;; amdgpu-corpus repo=ROCm/rocFFT kind=compiled arch=gfx1030 opt=O3
	.text
	.amdgcn_target "amdgcn-amd-amdhsa--gfx1030"
	.amdhsa_code_object_version 6
	.protected	bluestein_single_fwd_len748_dim1_dp_op_CI_CI ; -- Begin function bluestein_single_fwd_len748_dim1_dp_op_CI_CI
	.globl	bluestein_single_fwd_len748_dim1_dp_op_CI_CI
	.p2align	8
	.type	bluestein_single_fwd_len748_dim1_dp_op_CI_CI,@function
bluestein_single_fwd_len748_dim1_dp_op_CI_CI: ; @bluestein_single_fwd_len748_dim1_dp_op_CI_CI
; %bb.0:
	s_mov_b64 s[62:63], s[2:3]
	s_mov_b64 s[60:61], s[0:1]
	s_load_dwordx4 s[0:3], s[4:5], 0x28
	v_mul_u32_u24_e32 v1, 0x3c4, v0
	s_add_u32 s60, s60, s7
	s_addc_u32 s61, s61, 0
	v_lshrrev_b32_e32 v1, 16, v1
	v_mad_u64_u32 v[160:161], null, s6, 3, v[1:2]
	v_mov_b32_e32 v161, 0
                                        ; kill: def $vgpr2 killed $sgpr0 killed $exec
	s_waitcnt lgkmcnt(0)
	v_cmp_gt_u64_e32 vcc_lo, s[0:1], v[160:161]
	s_and_saveexec_b32 s0, vcc_lo
	s_cbranch_execz .LBB0_23
; %bb.1:
	v_mul_hi_u32 v2, 0xaaaaaaab, v160
	v_mul_lo_u16 v1, 0x44, v1
	s_clause 0x1
	s_load_dwordx2 s[8:9], s[4:5], 0x0
	s_load_dwordx2 s[10:11], s[4:5], 0x38
	v_sub_nc_u16 v0, v0, v1
	v_lshrrev_b32_e32 v2, 1, v2
	v_and_b32_e32 v155, 0xffff, v0
	v_cmp_gt_u16_e32 vcc_lo, 44, v0
	v_lshl_add_u32 v2, v2, 1, v2
	v_sub_nc_u32_e32 v1, v160, v2
	v_mul_u32_u24_e32 v167, 0x2ec, v1
	v_lshlrev_b32_e32 v0, 4, v167
	buffer_store_dword v0, off, s[60:63], 0 offset:4 ; 4-byte Folded Spill
	v_or_b32_e32 v0, 0x2c0, v155
	buffer_store_dword v0, off, s[60:63], 0 offset:44 ; 4-byte Folded Spill
	s_and_saveexec_b32 s1, vcc_lo
	s_cbranch_execz .LBB0_3
; %bb.2:
	s_load_dwordx2 s[6:7], s[4:5], 0x18
	v_lshlrev_b32_e32 v154, 4, v155
	v_or_b32_e32 v68, 0x2c0, v155
	s_waitcnt lgkmcnt(0)
	s_clause 0x1
	global_load_dwordx4 v[0:3], v154, s[8:9] offset:704
	global_load_dwordx4 v[4:7], v154, s[8:9] offset:1408
	v_add_co_u32 v8, s0, s8, v154
	v_add_co_ci_u32_e64 v9, null, s9, 0, s0
	v_lshlrev_b32_e32 v12, 4, v68
	v_add_co_u32 v24, s0, 0x800, v8
	v_add_co_ci_u32_e64 v25, s0, 0, v9, s0
	v_add_co_u32 v36, s0, 0x1000, v8
	v_add_co_ci_u32_e64 v37, s0, 0, v9, s0
	s_load_dwordx4 s[12:15], s[6:7], 0x0
	v_add_co_u32 v48, s0, 0x1800, v8
	v_add_co_ci_u32_e64 v49, s0, 0, v9, s0
	v_add_co_u32 v120, s0, 0x2000, v8
	v_add_co_ci_u32_e64 v121, s0, 0, v9, s0
	v_add_co_u32 v128, s0, 0x2800, v8
	v_add_co_ci_u32_e64 v129, s0, 0, v9, s0
	s_clause 0x9
	global_load_dwordx4 v[8:11], v154, s[8:9]
	global_load_dwordx4 v[12:15], v12, s[8:9]
	global_load_dwordx4 v[16:19], v[24:25], off offset:64
	global_load_dwordx4 v[20:23], v[24:25], off offset:768
	;; [unrolled: 1-line block ×8, first 2 shown]
	s_waitcnt lgkmcnt(0)
	v_mad_u64_u32 v[60:61], null, s14, v160, 0
	v_mad_u64_u32 v[62:63], null, s12, v155, 0
	s_mul_i32 s6, s13, 0x2c0
	s_mul_hi_u32 s7, s12, 0x2c0
	s_add_i32 s7, s7, s6
	v_mov_b32_e32 v50, v61
	v_mov_b32_e32 v51, v63
	v_mad_u64_u32 v[63:64], null, s15, v160, v[50:51]
	v_mad_u64_u32 v[66:67], null, s13, v155, v[51:52]
	;; [unrolled: 1-line block ×3, first 2 shown]
	s_mulk_i32 s12, 0x2c0
	s_clause 0x2
	global_load_dwordx4 v[48:51], v[48:49], off offset:1600
	global_load_dwordx4 v[52:55], v[120:121], off offset:256
	;; [unrolled: 1-line block ×3, first 2 shown]
	v_mov_b32_e32 v61, v63
	v_mov_b32_e32 v63, v66
	v_mad_u64_u32 v[65:66], null, s13, v68, v[65:66]
	v_lshlrev_b64 v[60:61], 4, v[60:61]
	v_lshlrev_b64 v[62:63], 4, v[62:63]
	v_add_co_u32 v70, s0, s2, v60
	v_add_co_ci_u32_e64 v71, s0, s3, v61, s0
	v_lshlrev_b64 v[60:61], 4, v[64:65]
	v_add_co_u32 v66, s0, v70, v62
	v_add_co_ci_u32_e64 v67, s0, v71, v63, s0
	v_add_co_u32 v68, s0, v66, s12
	v_add_co_ci_u32_e64 v69, s0, s7, v67, s0
	;; [unrolled: 2-line block ×5, first 2 shown]
	global_load_dwordx4 v[60:63], v[60:61], off
	v_add_co_u32 v80, s0, v76, s12
	v_add_co_ci_u32_e64 v81, s0, s7, v77, s0
	s_clause 0x1
	global_load_dwordx4 v[64:67], v[66:67], off
	global_load_dwordx4 v[68:71], v[68:69], off
	v_add_co_u32 v84, s0, v80, s12
	v_add_co_ci_u32_e64 v85, s0, s7, v81, s0
	s_clause 0x1
	global_load_dwordx4 v[72:75], v[72:73], off
	global_load_dwordx4 v[76:79], v[76:77], off
	v_add_co_u32 v88, s0, v84, s12
	v_add_co_ci_u32_e64 v89, s0, s7, v85, s0
	global_load_dwordx4 v[80:83], v[80:81], off
	v_add_co_u32 v92, s0, v88, s12
	v_add_co_ci_u32_e64 v93, s0, s7, v89, s0
	;; [unrolled: 3-line block ×10, first 2 shown]
	global_load_dwordx4 v[116:119], v[116:117], off
	global_load_dwordx4 v[120:123], v[120:121], off offset:1664
	global_load_dwordx4 v[124:127], v[124:125], off
	global_load_dwordx4 v[128:131], v[128:129], off offset:320
	global_load_dwordx4 v[132:135], v[132:133], off
	s_waitcnt vmcnt(18)
	v_mul_f64 v[138:139], v[62:63], v[14:15]
	v_mul_f64 v[152:153], v[60:61], v[14:15]
	s_waitcnt vmcnt(17)
	v_mul_f64 v[136:137], v[66:67], v[10:11]
	v_mul_f64 v[10:11], v[64:65], v[10:11]
	;; [unrolled: 3-line block ×6, first 2 shown]
	v_fma_f64 v[2:3], v[60:61], v[12:13], v[138:139]
	v_fma_f64 v[6:7], v[64:65], v[8:9], v[136:137]
	v_fma_f64 v[8:9], v[66:67], v[8:9], -v[10:11]
	s_waitcnt vmcnt(12)
	v_mul_f64 v[10:11], v[86:87], v[26:27]
	v_mul_f64 v[26:27], v[84:85], v[26:27]
	v_fma_f64 v[64:65], v[68:69], v[0:1], v[140:141]
	v_fma_f64 v[66:67], v[70:71], v[0:1], -v[142:143]
	s_waitcnt vmcnt(11)
	v_mul_f64 v[0:1], v[90:91], v[30:31]
	v_mul_f64 v[30:31], v[88:89], v[30:31]
	;; [unrolled: 5-line block ×3, first 2 shown]
	s_waitcnt vmcnt(9)
	v_mul_f64 v[60:61], v[98:99], v[38:39]
	v_mul_f64 v[38:39], v[96:97], v[38:39]
	s_waitcnt vmcnt(8)
	v_mul_f64 v[72:73], v[102:103], v[42:43]
	v_mul_f64 v[42:43], v[100:101], v[42:43]
	v_fma_f64 v[14:15], v[76:77], v[16:17], v[148:149]
	v_fma_f64 v[16:17], v[78:79], v[16:17], -v[18:19]
	v_fma_f64 v[18:19], v[80:81], v[20:21], v[150:151]
	s_waitcnt vmcnt(7)
	v_mul_f64 v[74:75], v[106:107], v[46:47]
	v_mul_f64 v[46:47], v[104:105], v[46:47]
	v_fma_f64 v[20:21], v[82:83], v[20:21], -v[22:23]
	s_waitcnt vmcnt(6)
	v_mul_f64 v[76:77], v[110:111], v[50:51]
	v_mul_f64 v[50:51], v[108:109], v[50:51]
	v_fma_f64 v[22:23], v[84:85], v[24:25], v[10:11]
	v_fma_f64 v[24:25], v[86:87], v[24:25], -v[26:27]
	v_fma_f64 v[26:27], v[88:89], v[28:29], v[0:1]
	s_waitcnt vmcnt(5)
	v_mul_f64 v[78:79], v[114:115], v[54:55]
	v_mul_f64 v[54:55], v[112:113], v[54:55]
	s_waitcnt vmcnt(4)
	v_mul_f64 v[80:81], v[118:119], v[58:59]
	v_mul_f64 v[58:59], v[116:117], v[58:59]
	;; [unrolled: 3-line block ×4, first 2 shown]
	v_fma_f64 v[28:29], v[90:91], v[28:29], -v[30:31]
	v_fma_f64 v[30:31], v[92:93], v[32:33], v[4:5]
	v_fma_f64 v[32:33], v[94:95], v[32:33], -v[34:35]
	v_fma_f64 v[34:35], v[96:97], v[36:37], v[60:61]
	;; [unrolled: 2-line block ×5, first 2 shown]
	v_fma_f64 v[48:49], v[110:111], v[48:49], -v[50:51]
	v_lshlrev_b32_e32 v1, 4, v167
	v_fma_f64 v[4:5], v[62:63], v[12:13], -v[152:153]
	v_fma_f64 v[50:51], v[112:113], v[52:53], v[78:79]
	v_fma_f64 v[52:53], v[114:115], v[52:53], -v[54:55]
	v_fma_f64 v[54:55], v[116:117], v[56:57], v[80:81]
	;; [unrolled: 2-line block ×4, first 2 shown]
	v_fma_f64 v[74:75], v[134:135], v[128:129], -v[130:131]
	v_lshl_add_u32 v0, v155, 4, v1
	v_add_nc_u32_e32 v1, v1, v154
	ds_write_b128 v0, v[6:9]
	ds_write_b128 v1, v[64:67] offset:704
	ds_write_b128 v1, v[68:71] offset:1408
	;; [unrolled: 1-line block ×16, first 2 shown]
.LBB0_3:
	s_or_b32 exec_lo, exec_lo, s1
	s_waitcnt lgkmcnt(0)
	s_waitcnt_vscnt null, 0x0
	s_barrier
	buffer_gl0_inv
                                        ; implicit-def: $vgpr28_vgpr29
                                        ; implicit-def: $vgpr48_vgpr49
                                        ; implicit-def: $vgpr52_vgpr53
                                        ; implicit-def: $vgpr64_vgpr65
                                        ; implicit-def: $vgpr76_vgpr77
                                        ; implicit-def: $vgpr44_vgpr45
                                        ; implicit-def: $vgpr40_vgpr41
                                        ; implicit-def: $vgpr36_vgpr37
                                        ; implicit-def: $vgpr32_vgpr33
                                        ; implicit-def: $vgpr22_vgpr23
                                        ; implicit-def: $vgpr179_vgpr180
                                        ; implicit-def: $vgpr84_vgpr85
                                        ; implicit-def: $vgpr80_vgpr81
                                        ; implicit-def: $vgpr72_vgpr73
                                        ; implicit-def: $vgpr235_vgpr236
                                        ; implicit-def: $vgpr60_vgpr61
                                        ; implicit-def: $vgpr56_vgpr57
	s_and_saveexec_b32 s0, vcc_lo
	s_cbranch_execz .LBB0_5
; %bb.4:
	v_lshlrev_b32_e32 v0, 4, v155
	v_lshl_add_u32 v0, v167, 4, v0
	ds_read_b128 v[28:31], v0
	ds_read_b128 v[56:59], v0 offset:704
	ds_read_b128 v[60:63], v0 offset:1408
	;; [unrolled: 1-line block ×16, first 2 shown]
.LBB0_5:
	s_or_b32 exec_lo, exec_lo, s0
	s_waitcnt lgkmcnt(1)
	v_add_f64 v[112:113], v[60:61], -v[22:23]
	s_mov_b32 s46, 0x2a9d6da3
	s_mov_b32 s47, 0xbfe58eea
	s_waitcnt lgkmcnt(0)
	v_add_f64 v[2:3], v[58:59], -v[181:182]
	s_mov_b32 s40, 0x5d8e7cdc
	s_mov_b32 s41, 0xbfd71e95
	v_add_f64 v[108:109], v[179:180], v[56:57]
	v_add_f64 v[0:1], v[56:57], -v[179:180]
	v_add_f64 v[114:115], v[62:63], -v[24:25]
	s_mov_b32 s0, 0x370991
	s_mov_b32 s1, 0x3fedd6d0
	v_add_f64 v[110:111], v[181:182], v[58:59]
	v_add_f64 v[104:105], v[22:23], v[60:61]
	s_mov_b32 s6, 0x75d4884
	s_mov_b32 s7, 0x3fe7a5f6
	v_add_f64 v[106:107], v[24:25], v[62:63]
	s_mov_b32 s42, 0xeb564b22
	s_mov_b32 s43, 0xbfefdd0d
	;; [unrolled: 1-line block ×6, first 2 shown]
	v_mul_f64 v[118:119], v[112:113], s[46:47]
	s_mov_b32 s36, 0x7c9e640b
	s_mov_b32 s37, 0xbfeca52d
	v_mul_f64 v[136:137], v[2:3], s[40:41]
	v_mul_f64 v[144:145], v[2:3], s[46:47]
	;; [unrolled: 1-line block ×3, first 2 shown]
	s_mov_b32 s12, 0x2b2883cd
	v_mul_f64 v[140:141], v[0:1], s[40:41]
	v_mul_f64 v[251:252], v[114:115], s[46:47]
	;; [unrolled: 1-line block ×3, first 2 shown]
	s_mov_b32 s13, 0x3fdc86fa
	v_mul_f64 v[20:21], v[0:1], s[36:37]
	s_mov_b32 s18, 0x6ed5f1bb
	s_mov_b32 s19, 0xbfe348c8
	;; [unrolled: 1-line block ×4, first 2 shown]
	v_mul_f64 v[26:27], v[2:3], s[42:43]
	v_mul_f64 v[183:184], v[0:1], s[42:43]
	s_mov_b32 s16, 0x7faef3
	s_mov_b32 s17, 0xbfef7484
	;; [unrolled: 1-line block ×4, first 2 shown]
	buffer_store_dword v118, off, s[60:63], 0 offset:12 ; 4-byte Folded Spill
	buffer_store_dword v119, off, s[60:63], 0 offset:16 ; 4-byte Folded Spill
	s_mov_b32 s51, 0x3fe0d888
	s_mov_b32 s50, s30
	v_fma_f64 v[4:5], v[108:109], s[0:1], v[136:137]
	v_fma_f64 v[8:9], v[108:109], s[6:7], v[144:145]
	;; [unrolled: 1-line block ×3, first 2 shown]
	s_mov_b32 s24, 0x923c349f
	v_fma_f64 v[6:7], v[110:111], s[0:1], -v[140:141]
	v_fma_f64 v[116:117], v[104:105], s[6:7], v[251:252]
	v_fma_f64 v[10:11], v[110:111], s[6:7], -v[148:149]
	s_mov_b32 s25, 0xbfeec746
	v_fma_f64 v[14:15], v[110:111], s[12:13], -v[20:21]
	v_mul_f64 v[187:188], v[2:3], s[24:25]
	s_mov_b32 s22, 0xc61f0d01
	s_mov_b32 s23, 0xbfd183b1
	v_mul_f64 v[68:69], v[0:1], s[24:25]
	v_fma_f64 v[16:17], v[108:109], s[20:21], v[26:27]
	v_fma_f64 v[18:19], v[110:111], s[20:21], -v[183:184]
	s_mov_b32 s14, 0x910ea3b9
	s_mov_b32 s15, 0xbfeb34fa
	;; [unrolled: 1-line block ×4, first 2 shown]
	v_mul_f64 v[241:242], v[2:3], s[26:27]
	v_mul_f64 v[245:246], v[0:1], s[26:27]
	s_mov_b32 s29, 0x3feca52d
	v_add_f64 v[4:5], v[28:29], v[4:5]
	v_add_f64 v[8:9], v[28:29], v[8:9]
	;; [unrolled: 1-line block ×3, first 2 shown]
	s_mov_b32 s28, s36
	v_add_f64 v[6:7], v[30:31], v[6:7]
	v_mul_f64 v[247:248], v[2:3], s[30:31]
	v_add_f64 v[10:11], v[30:31], v[10:11]
	v_mul_f64 v[249:250], v[0:1], s[30:31]
	v_add_f64 v[14:15], v[30:31], v[14:15]
	v_fma_f64 v[88:89], v[108:109], s[22:23], v[187:188]
	v_mul_f64 v[2:3], v[2:3], s[34:35]
	s_mov_b32 s45, 0x3fd71e95
	v_fma_f64 v[90:91], v[110:111], s[22:23], -v[68:69]
	v_add_f64 v[16:17], v[28:29], v[16:17]
	v_add_f64 v[18:19], v[30:31], v[18:19]
	s_mov_b32 s44, s40
	v_mul_f64 v[0:1], v[0:1], s[34:35]
	v_add_f64 v[156:157], v[48:49], v[32:33]
	v_add_f64 v[158:159], v[50:51], v[34:35]
	v_fma_f64 v[92:93], v[108:109], s[18:19], v[241:242]
	v_fma_f64 v[94:95], v[110:111], s[18:19], -v[245:246]
	s_mov_b32 s39, 0x3fc7851a
	v_add_f64 v[4:5], v[116:117], v[4:5]
	s_mov_b32 s38, s34
	v_add_f64 v[185:186], v[52:53], v[36:37]
	v_add_f64 v[189:190], v[54:55], v[38:39]
	s_mov_b32 s53, 0x3fe9895b
	v_fma_f64 v[96:97], v[108:109], s[14:15], v[247:248]
	s_mov_b32 s52, s26
	v_fma_f64 v[98:99], v[110:111], s[14:15], -v[249:250]
	v_add_f64 v[128:129], v[237:238], -v[42:43]
	v_add_f64 v[88:89], v[28:29], v[88:89]
	v_fma_f64 v[100:101], v[108:109], s[16:17], -v[2:3]
	v_fma_f64 v[2:3], v[108:109], s[16:17], v[2:3]
	v_add_f64 v[90:91], v[30:31], v[90:91]
	v_add_f64 v[124:125], v[235:236], -v[40:41]
	v_add_f64 v[215:216], v[40:41], v[235:236]
	v_add_f64 v[219:220], v[42:43], v[237:238]
	v_fma_f64 v[102:103], v[110:111], s[16:17], v[0:1]
	v_fma_f64 v[0:1], v[110:111], s[16:17], -v[0:1]
	v_add_f64 v[132:133], v[74:75], -v[46:47]
	v_add_f64 v[92:93], v[28:29], v[92:93]
	v_add_f64 v[94:95], v[30:31], v[94:95]
	;; [unrolled: 1-line block ×4, first 2 shown]
	v_add_f64 v[173:174], v[64:65], -v[84:85]
	v_add_f64 v[177:178], v[66:67], -v[86:87]
	;; [unrolled: 1-line block ×4, first 2 shown]
	v_add_f64 v[96:97], v[28:29], v[96:97]
	s_load_dwordx2 s[2:3], s[4:5], 0x20
	v_add_f64 v[98:99], v[30:31], v[98:99]
	v_mul_f64 v[253:254], v[128:129], s[36:37]
	v_add_f64 v[100:101], v[28:29], v[100:101]
	v_add_f64 v[2:3], v[28:29], v[2:3]
	v_mul_f64 v[126:127], v[124:125], s[40:41]
	v_add_f64 v[102:103], v[30:31], v[102:103]
	v_add_f64 v[0:1], v[30:31], v[0:1]
	v_mul_f64 v[163:164], v[132:133], s[34:35]
	v_mul_f64 v[213:214], v[173:174], s[28:29]
	;; [unrolled: 1-line block ×7, first 2 shown]
	v_fma_f64 v[116:117], v[106:107], s[6:7], -v[118:119]
	v_mul_f64 v[118:119], v[112:113], s[42:43]
	v_add_f64 v[6:7], v[116:117], v[6:7]
	v_mul_f64 v[116:117], v[114:115], s[42:43]
	buffer_store_dword v116, off, s[60:63], 0 offset:20 ; 4-byte Folded Spill
	buffer_store_dword v117, off, s[60:63], 0 offset:24 ; 4-byte Folded Spill
	buffer_store_dword v118, off, s[60:63], 0 offset:28 ; 4-byte Folded Spill
	buffer_store_dword v119, off, s[60:63], 0 offset:32 ; 4-byte Folded Spill
	v_fma_f64 v[116:117], v[104:105], s[20:21], v[116:117]
	v_add_f64 v[8:9], v[116:117], v[8:9]
	v_fma_f64 v[116:117], v[106:107], s[20:21], -v[118:119]
	v_mul_f64 v[118:119], v[112:113], s[26:27]
	v_add_f64 v[10:11], v[116:117], v[10:11]
	v_mul_f64 v[116:117], v[114:115], s[26:27]
	buffer_store_dword v116, off, s[60:63], 0 offset:36 ; 4-byte Folded Spill
	buffer_store_dword v117, off, s[60:63], 0 offset:40 ; 4-byte Folded Spill
	buffer_store_dword v118, off, s[60:63], 0 offset:48 ; 4-byte Folded Spill
	buffer_store_dword v119, off, s[60:63], 0 offset:52 ; 4-byte Folded Spill
	v_fma_f64 v[116:117], v[104:105], s[18:19], v[116:117]
	v_add_f64 v[12:13], v[116:117], v[12:13]
	;; [unrolled: 10-line block ×5, first 2 shown]
	v_fma_f64 v[116:117], v[106:107], s[22:23], -v[118:119]
	v_mul_f64 v[118:119], v[112:113], s[28:29]
	v_mul_f64 v[112:113], v[112:113], s[44:45]
	v_add_f64 v[94:95], v[116:117], v[94:95]
	v_mul_f64 v[116:117], v[114:115], s[28:29]
	v_mul_f64 v[114:115], v[114:115], s[44:45]
	buffer_store_dword v116, off, s[60:63], 0 offset:104 ; 4-byte Folded Spill
	buffer_store_dword v117, off, s[60:63], 0 offset:108 ; 4-byte Folded Spill
	;; [unrolled: 1-line block ×4, first 2 shown]
	v_fma_f64 v[116:117], v[104:105], s[12:13], v[116:117]
	v_add_f64 v[96:97], v[116:117], v[96:97]
	v_fma_f64 v[116:117], v[106:107], s[12:13], -v[118:119]
	v_add_f64 v[98:99], v[116:117], v[98:99]
	v_fma_f64 v[116:117], v[104:105], s[0:1], -v[114:115]
	v_fma_f64 v[114:115], v[104:105], s[0:1], v[114:115]
	v_add_f64 v[100:101], v[116:117], v[100:101]
	v_fma_f64 v[116:117], v[106:107], s[0:1], v[112:113]
	v_add_f64 v[2:3], v[114:115], v[2:3]
	v_fma_f64 v[112:113], v[106:107], s[0:1], -v[112:113]
	v_add_f64 v[114:115], v[50:51], -v[34:35]
	v_add_f64 v[102:103], v[116:117], v[102:103]
	v_add_f64 v[0:1], v[112:113], v[0:1]
	v_add_f64 v[112:113], v[48:49], -v[32:33]
	v_mul_f64 v[116:117], v[114:115], s[36:37]
	buffer_store_dword v116, off, s[60:63], 0 offset:120 ; 4-byte Folded Spill
	buffer_store_dword v117, off, s[60:63], 0 offset:124 ; 4-byte Folded Spill
	v_mul_f64 v[118:119], v[112:113], s[36:37]
	buffer_store_dword v118, off, s[60:63], 0 offset:128 ; 4-byte Folded Spill
	buffer_store_dword v119, off, s[60:63], 0 offset:132 ; 4-byte Folded Spill
	v_fma_f64 v[116:117], v[156:157], s[12:13], v[116:117]
	v_add_f64 v[4:5], v[116:117], v[4:5]
	v_fma_f64 v[116:117], v[158:159], s[12:13], -v[118:119]
	v_mul_f64 v[118:119], v[112:113], s[26:27]
	v_add_f64 v[6:7], v[116:117], v[6:7]
	v_mul_f64 v[116:117], v[114:115], s[26:27]
	buffer_store_dword v116, off, s[60:63], 0 offset:136 ; 4-byte Folded Spill
	buffer_store_dword v117, off, s[60:63], 0 offset:140 ; 4-byte Folded Spill
	;; [unrolled: 1-line block ×4, first 2 shown]
	v_fma_f64 v[116:117], v[156:157], s[18:19], v[116:117]
	v_add_f64 v[8:9], v[116:117], v[8:9]
	v_fma_f64 v[116:117], v[158:159], s[18:19], -v[118:119]
	v_mul_f64 v[118:119], v[112:113], s[38:39]
	v_add_f64 v[10:11], v[116:117], v[10:11]
	v_mul_f64 v[116:117], v[114:115], s[38:39]
	buffer_store_dword v116, off, s[60:63], 0 offset:144 ; 4-byte Folded Spill
	buffer_store_dword v117, off, s[60:63], 0 offset:148 ; 4-byte Folded Spill
	;; [unrolled: 1-line block ×4, first 2 shown]
	s_mov_b32 s39, 0x3fe58eea
	s_mov_b32 s38, s46
	v_mul_f64 v[199:200], v[177:178], s[38:39]
	v_mul_f64 v[201:202], v[173:174], s[38:39]
	v_fma_f64 v[116:117], v[156:157], s[16:17], v[116:117]
	v_add_f64 v[12:13], v[116:117], v[12:13]
	v_fma_f64 v[116:117], v[158:159], s[16:17], -v[118:119]
	v_mul_f64 v[118:119], v[112:113], s[48:49]
	v_add_f64 v[14:15], v[116:117], v[14:15]
	v_mul_f64 v[116:117], v[114:115], s[48:49]
	buffer_store_dword v116, off, s[60:63], 0 offset:168 ; 4-byte Folded Spill
	buffer_store_dword v117, off, s[60:63], 0 offset:172 ; 4-byte Folded Spill
	buffer_store_dword v118, off, s[60:63], 0 offset:176 ; 4-byte Folded Spill
	buffer_store_dword v119, off, s[60:63], 0 offset:180 ; 4-byte Folded Spill
	v_fma_f64 v[116:117], v[156:157], s[22:23], v[116:117]
	v_add_f64 v[16:17], v[116:117], v[16:17]
	v_fma_f64 v[116:117], v[158:159], s[22:23], -v[118:119]
	v_mul_f64 v[118:119], v[112:113], s[38:39]
	v_add_f64 v[18:19], v[116:117], v[18:19]
	v_mul_f64 v[116:117], v[114:115], s[38:39]
	buffer_store_dword v116, off, s[60:63], 0 offset:184 ; 4-byte Folded Spill
	buffer_store_dword v117, off, s[60:63], 0 offset:188 ; 4-byte Folded Spill
	buffer_store_dword v118, off, s[60:63], 0 offset:192 ; 4-byte Folded Spill
	buffer_store_dword v119, off, s[60:63], 0 offset:196 ; 4-byte Folded Spill
	;; [unrolled: 10-line block ×3, first 2 shown]
	v_fma_f64 v[116:117], v[156:157], s[0:1], v[116:117]
	v_add_f64 v[92:93], v[116:117], v[92:93]
	v_fma_f64 v[116:117], v[158:159], s[0:1], -v[118:119]
	v_mul_f64 v[118:119], v[112:113], s[42:43]
	v_mul_f64 v[112:113], v[112:113], s[30:31]
	v_add_f64 v[94:95], v[116:117], v[94:95]
	v_mul_f64 v[116:117], v[114:115], s[42:43]
	buffer_store_dword v116, off, s[60:63], 0 offset:216 ; 4-byte Folded Spill
	buffer_store_dword v117, off, s[60:63], 0 offset:220 ; 4-byte Folded Spill
	;; [unrolled: 1-line block ×4, first 2 shown]
	v_mul_f64 v[114:115], v[114:115], s[30:31]
	v_fma_f64 v[116:117], v[156:157], s[20:21], v[116:117]
	v_add_f64 v[96:97], v[116:117], v[96:97]
	v_fma_f64 v[116:117], v[158:159], s[20:21], -v[118:119]
	v_add_f64 v[98:99], v[116:117], v[98:99]
	v_fma_f64 v[116:117], v[156:157], s[14:15], -v[114:115]
	v_fma_f64 v[114:115], v[156:157], s[14:15], v[114:115]
	v_add_f64 v[100:101], v[116:117], v[100:101]
	v_fma_f64 v[116:117], v[158:159], s[14:15], v[112:113]
	v_add_f64 v[2:3], v[114:115], v[2:3]
	v_fma_f64 v[112:113], v[158:159], s[14:15], -v[112:113]
	v_add_f64 v[114:115], v[54:55], -v[38:39]
	v_add_f64 v[102:103], v[116:117], v[102:103]
	v_add_f64 v[0:1], v[112:113], v[0:1]
	v_add_f64 v[112:113], v[52:53], -v[36:37]
	v_mul_f64 v[116:117], v[114:115], s[42:43]
	buffer_store_dword v116, off, s[60:63], 0 offset:232 ; 4-byte Folded Spill
	buffer_store_dword v117, off, s[60:63], 0 offset:236 ; 4-byte Folded Spill
	v_mul_f64 v[118:119], v[112:113], s[42:43]
	buffer_store_dword v118, off, s[60:63], 0 offset:240 ; 4-byte Folded Spill
	buffer_store_dword v119, off, s[60:63], 0 offset:244 ; 4-byte Folded Spill
	v_fma_f64 v[116:117], v[185:186], s[20:21], v[116:117]
	v_add_f64 v[4:5], v[116:117], v[4:5]
	v_fma_f64 v[116:117], v[189:190], s[20:21], -v[118:119]
	v_mul_f64 v[118:119], v[112:113], s[34:35]
	v_add_f64 v[6:7], v[116:117], v[6:7]
	v_mul_f64 v[116:117], v[114:115], s[34:35]
	buffer_store_dword v116, off, s[60:63], 0 offset:248 ; 4-byte Folded Spill
	buffer_store_dword v117, off, s[60:63], 0 offset:252 ; 4-byte Folded Spill
	buffer_store_dword v118, off, s[60:63], 0 offset:256 ; 4-byte Folded Spill
	buffer_store_dword v119, off, s[60:63], 0 offset:260 ; 4-byte Folded Spill
	v_fma_f64 v[116:117], v[185:186], s[16:17], v[116:117]
	v_add_f64 v[8:9], v[116:117], v[8:9]
	v_fma_f64 v[116:117], v[189:190], s[16:17], -v[118:119]
	v_mul_f64 v[118:119], v[112:113], s[48:49]
	v_add_f64 v[10:11], v[116:117], v[10:11]
	v_mul_f64 v[116:117], v[114:115], s[48:49]
	buffer_store_dword v116, off, s[60:63], 0 offset:264 ; 4-byte Folded Spill
	buffer_store_dword v117, off, s[60:63], 0 offset:268 ; 4-byte Folded Spill
	;; [unrolled: 10-line block ×5, first 2 shown]
	buffer_store_dword v118, off, s[60:63], 0 offset:320 ; 4-byte Folded Spill
	buffer_store_dword v119, off, s[60:63], 0 offset:324 ; 4-byte Folded Spill
	v_fma_f64 v[116:117], v[185:186], s[14:15], v[116:117]
	v_add_f64 v[92:93], v[116:117], v[92:93]
	v_fma_f64 v[116:117], v[189:190], s[14:15], -v[118:119]
	v_mul_f64 v[118:119], v[112:113], s[52:53]
	v_mul_f64 v[112:113], v[112:113], s[38:39]
	v_add_f64 v[94:95], v[116:117], v[94:95]
	v_mul_f64 v[116:117], v[114:115], s[52:53]
	buffer_store_dword v116, off, s[60:63], 0 offset:328 ; 4-byte Folded Spill
	buffer_store_dword v117, off, s[60:63], 0 offset:332 ; 4-byte Folded Spill
	;; [unrolled: 1-line block ×4, first 2 shown]
	v_mul_f64 v[114:115], v[114:115], s[38:39]
	v_fma_f64 v[116:117], v[185:186], s[18:19], v[116:117]
	v_add_f64 v[96:97], v[116:117], v[96:97]
	v_fma_f64 v[116:117], v[189:190], s[18:19], -v[118:119]
	v_add_f64 v[98:99], v[116:117], v[98:99]
	v_fma_f64 v[116:117], v[185:186], s[6:7], -v[114:115]
	v_fma_f64 v[114:115], v[185:186], s[6:7], v[114:115]
	v_add_f64 v[100:101], v[116:117], v[100:101]
	v_fma_f64 v[116:117], v[189:190], s[6:7], v[112:113]
	v_fma_f64 v[112:113], v[189:190], s[6:7], -v[112:113]
	v_add_f64 v[2:3], v[114:115], v[2:3]
	v_mul_f64 v[114:115], v[124:125], s[24:25]
	v_add_f64 v[102:103], v[116:117], v[102:103]
	v_add_f64 v[0:1], v[112:113], v[0:1]
	v_mul_f64 v[112:113], v[128:129], s[24:25]
	buffer_store_dword v112, off, s[60:63], 0 offset:344 ; 4-byte Folded Spill
	buffer_store_dword v113, off, s[60:63], 0 offset:348 ; 4-byte Folded Spill
	;; [unrolled: 1-line block ×4, first 2 shown]
	v_mul_f64 v[116:117], v[124:125], s[34:35]
	v_fma_f64 v[112:113], v[215:216], s[22:23], v[112:113]
	v_add_f64 v[4:5], v[112:113], v[4:5]
	v_fma_f64 v[112:113], v[219:220], s[22:23], -v[114:115]
	v_mul_f64 v[114:115], v[124:125], s[50:51]
	v_add_f64 v[6:7], v[112:113], v[6:7]
	v_mul_f64 v[112:113], v[128:129], s[50:51]
	buffer_store_dword v112, off, s[60:63], 0 offset:360 ; 4-byte Folded Spill
	buffer_store_dword v113, off, s[60:63], 0 offset:364 ; 4-byte Folded Spill
	;; [unrolled: 1-line block ×4, first 2 shown]
	v_fma_f64 v[112:113], v[215:216], s[14:15], v[112:113]
	v_add_f64 v[8:9], v[112:113], v[8:9]
	v_fma_f64 v[112:113], v[219:220], s[14:15], -v[114:115]
	v_mul_f64 v[114:115], v[124:125], s[38:39]
	v_add_f64 v[10:11], v[112:113], v[10:11]
	v_mul_f64 v[112:113], v[128:129], s[38:39]
	buffer_store_dword v112, off, s[60:63], 0 offset:376 ; 4-byte Folded Spill
	buffer_store_dword v113, off, s[60:63], 0 offset:380 ; 4-byte Folded Spill
	;; [unrolled: 1-line block ×4, first 2 shown]
	v_fma_f64 v[112:113], v[215:216], s[6:7], v[112:113]
	v_add_f64 v[12:13], v[112:113], v[12:13]
	v_fma_f64 v[112:113], v[219:220], s[6:7], -v[114:115]
	v_fma_f64 v[114:115], v[215:216], s[12:13], v[253:254]
	v_add_f64 v[14:15], v[112:113], v[14:15]
	v_mul_f64 v[112:113], v[124:125], s[36:37]
	v_add_f64 v[16:17], v[114:115], v[16:17]
	s_mov_b32 s37, 0x3fefdd0d
	s_mov_b32 s36, s42
	v_mul_f64 v[120:121], v[124:125], s[36:37]
	v_mul_f64 v[124:125], v[124:125], s[26:27]
	v_fma_f64 v[114:115], v[219:220], s[12:13], -v[112:113]
	v_add_f64 v[18:19], v[114:115], v[18:19]
	v_mul_f64 v[114:115], v[128:129], s[34:35]
	v_fma_f64 v[118:119], v[215:216], s[16:17], v[114:115]
	v_add_f64 v[88:89], v[118:119], v[88:89]
	v_fma_f64 v[118:119], v[219:220], s[16:17], -v[116:117]
	v_add_f64 v[90:91], v[118:119], v[90:91]
	v_mul_f64 v[118:119], v[128:129], s[36:37]
	v_fma_f64 v[122:123], v[215:216], s[20:21], v[118:119]
	v_add_f64 v[92:93], v[122:123], v[92:93]
	v_fma_f64 v[122:123], v[219:220], s[20:21], -v[120:121]
	v_add_f64 v[94:95], v[122:123], v[94:95]
	v_mul_f64 v[122:123], v[128:129], s[40:41]
	v_mul_f64 v[128:129], v[128:129], s[26:27]
	v_fma_f64 v[130:131], v[215:216], s[0:1], v[122:123]
	v_add_f64 v[96:97], v[130:131], v[96:97]
	v_fma_f64 v[130:131], v[219:220], s[0:1], -v[126:127]
	v_add_f64 v[98:99], v[130:131], v[98:99]
	v_fma_f64 v[130:131], v[215:216], s[18:19], -v[128:129]
	v_fma_f64 v[128:129], v[215:216], s[18:19], v[128:129]
	v_add_f64 v[100:101], v[130:131], v[100:101]
	v_fma_f64 v[130:131], v[219:220], s[18:19], v[124:125]
	v_fma_f64 v[124:125], v[219:220], s[18:19], -v[124:125]
	v_add_f64 v[2:3], v[128:129], v[2:3]
	v_mul_f64 v[128:129], v[132:133], s[26:27]
	v_add_f64 v[102:103], v[130:131], v[102:103]
	v_add_f64 v[130:131], v[72:73], -v[44:45]
	v_add_f64 v[0:1], v[124:125], v[0:1]
	v_fma_f64 v[134:135], v[70:71], s[18:19], v[128:129]
	v_mul_f64 v[124:125], v[130:131], s[36:37]
	buffer_store_dword v124, off, s[60:63], 0 offset:392 ; 4-byte Folded Spill
	buffer_store_dword v125, off, s[60:63], 0 offset:396 ; 4-byte Folded Spill
	v_mul_f64 v[191:192], v[130:131], s[26:27]
	v_add_f64 v[4:5], v[134:135], v[4:5]
	v_mul_f64 v[193:194], v[130:131], s[48:49]
	v_mul_f64 v[203:204], v[130:131], s[40:41]
	;; [unrolled: 1-line block ×6, first 2 shown]
	v_fma_f64 v[134:135], v[243:244], s[18:19], -v[191:192]
	v_add_f64 v[6:7], v[134:135], v[6:7]
	v_mul_f64 v[134:135], v[132:133], s[48:49]
	v_fma_f64 v[138:139], v[70:71], s[22:23], v[134:135]
	v_add_f64 v[8:9], v[138:139], v[8:9]
	v_fma_f64 v[138:139], v[243:244], s[22:23], -v[193:194]
	v_add_f64 v[10:11], v[138:139], v[10:11]
	v_mul_f64 v[138:139], v[132:133], s[40:41]
	v_fma_f64 v[142:143], v[70:71], s[0:1], v[138:139]
	v_add_f64 v[12:13], v[142:143], v[12:13]
	;; [unrolled: 5-line block ×4, first 2 shown]
	v_fma_f64 v[150:151], v[243:244], s[20:21], -v[124:125]
	v_mul_f64 v[124:125], v[173:174], s[30:31]
	buffer_store_dword v124, off, s[60:63], 0 offset:400 ; 4-byte Folded Spill
	buffer_store_dword v125, off, s[60:63], 0 offset:404 ; 4-byte Folded Spill
	v_add_f64 v[90:91], v[150:151], v[90:91]
	v_mul_f64 v[150:151], v[132:133], s[46:47]
	v_mul_f64 v[132:133], v[132:133], s[28:29]
	v_fma_f64 v[152:153], v[70:71], s[6:7], v[150:151]
	v_add_f64 v[92:93], v[152:153], v[92:93]
	v_fma_f64 v[152:153], v[243:244], s[6:7], -v[161:162]
	v_add_f64 v[94:95], v[152:153], v[94:95]
	v_fma_f64 v[152:153], v[70:71], s[16:17], v[163:164]
	v_add_f64 v[96:97], v[152:153], v[96:97]
	v_fma_f64 v[152:153], v[243:244], s[16:17], -v[169:170]
	v_add_f64 v[98:99], v[152:153], v[98:99]
	v_fma_f64 v[152:153], v[70:71], s[12:13], -v[132:133]
	v_fma_f64 v[132:133], v[70:71], s[12:13], v[132:133]
	v_add_f64 v[100:101], v[152:153], v[100:101]
	v_fma_f64 v[152:153], v[243:244], s[12:13], v[130:131]
	v_fma_f64 v[130:131], v[243:244], s[12:13], -v[130:131]
	v_add_f64 v[2:3], v[132:133], v[2:3]
	v_add_f64 v[132:133], v[66:67], v[86:87]
	;; [unrolled: 1-line block ×5, first 2 shown]
	v_mul_f64 v[152:153], v[177:178], s[30:31]
	v_fma_f64 v[165:166], v[130:131], s[14:15], v[152:153]
	v_add_f64 v[4:5], v[165:166], v[4:5]
	v_fma_f64 v[165:166], v[132:133], s[14:15], -v[124:125]
	v_mul_f64 v[124:125], v[231:232], s[38:39]
	v_add_f64 v[6:7], v[165:166], v[6:7]
	v_mul_f64 v[165:166], v[177:178], s[28:29]
	v_fma_f64 v[171:172], v[130:131], s[12:13], v[165:166]
	v_add_f64 v[207:208], v[171:172], v[8:9]
	v_fma_f64 v[8:9], v[132:133], s[12:13], -v[213:214]
	v_mul_f64 v[171:172], v[177:178], s[42:43]
	v_add_f64 v[209:210], v[8:9], v[10:11]
	v_fma_f64 v[8:9], v[130:131], s[20:21], v[171:172]
	v_fma_f64 v[10:11], v[132:133], s[20:21], -v[221:222]
	v_add_f64 v[8:9], v[8:9], v[12:13]
	v_mul_f64 v[12:13], v[177:178], s[52:53]
	buffer_store_dword v12, off, s[60:63], 0 offset:408 ; 4-byte Folded Spill
	buffer_store_dword v13, off, s[60:63], 0 offset:412 ; 4-byte Folded Spill
	v_add_f64 v[10:11], v[10:11], v[14:15]
	v_mul_f64 v[14:15], v[173:174], s[52:53]
	buffer_store_dword v14, off, s[60:63], 0 offset:416 ; 4-byte Folded Spill
	buffer_store_dword v15, off, s[60:63], 0 offset:420 ; 4-byte Folded Spill
	v_fma_f64 v[12:13], v[130:131], s[18:19], v[12:13]
	v_add_f64 v[12:13], v[12:13], v[16:17]
	v_mul_f64 v[16:17], v[177:178], s[40:41]
	buffer_store_dword v16, off, s[60:63], 0 offset:424 ; 4-byte Folded Spill
	buffer_store_dword v17, off, s[60:63], 0 offset:428 ; 4-byte Folded Spill
	v_fma_f64 v[14:15], v[132:133], s[18:19], -v[14:15]
	v_mul_f64 v[177:178], v[177:178], s[24:25]
	v_add_f64 v[14:15], v[14:15], v[18:19]
	v_mul_f64 v[18:19], v[173:174], s[40:41]
	buffer_store_dword v18, off, s[60:63], 0 offset:432 ; 4-byte Folded Spill
	buffer_store_dword v19, off, s[60:63], 0 offset:436 ; 4-byte Folded Spill
	v_mul_f64 v[173:174], v[173:174], s[24:25]
	v_fma_f64 v[16:17], v[130:131], s[0:1], v[16:17]
	v_add_f64 v[16:17], v[16:17], v[88:89]
	v_fma_f64 v[88:89], v[130:131], s[16:17], v[195:196]
	v_add_f64 v[88:89], v[88:89], v[92:93]
	v_fma_f64 v[92:93], v[130:131], s[6:7], v[199:200]
	v_fma_f64 v[18:19], v[132:133], s[0:1], -v[18:19]
	v_add_f64 v[96:97], v[92:93], v[96:97]
	v_fma_f64 v[92:93], v[132:133], s[6:7], -v[201:202]
	v_add_f64 v[18:19], v[18:19], v[90:91]
	;; [unrolled: 2-line block ×4, first 2 shown]
	v_fma_f64 v[94:95], v[132:133], s[22:23], v[173:174]
	v_add_f64 v[92:93], v[92:93], v[100:101]
	v_fma_f64 v[100:101], v[130:131], s[22:23], v[177:178]
	v_add_f64 v[94:95], v[94:95], v[102:103]
	v_add_f64 v[177:178], v[78:79], v[82:83]
	;; [unrolled: 1-line block ×3, first 2 shown]
	v_fma_f64 v[2:3], v[132:133], s[22:23], -v[173:174]
	v_add_f64 v[173:174], v[76:77], v[80:81]
	v_add_f64 v[102:103], v[2:3], v[0:1]
	v_mul_f64 v[0:1], v[233:234], s[34:35]
	v_mul_f64 v[2:3], v[231:232], s[34:35]
	buffer_store_dword v0, off, s[60:63], 0 offset:440 ; 4-byte Folded Spill
	buffer_store_dword v1, off, s[60:63], 0 offset:444 ; 4-byte Folded Spill
	;; [unrolled: 1-line block ×4, first 2 shown]
	v_fma_f64 v[0:1], v[173:174], s[16:17], v[0:1]
	v_fma_f64 v[2:3], v[177:178], s[16:17], -v[2:3]
	v_add_f64 v[0:1], v[0:1], v[4:5]
	v_mul_f64 v[4:5], v[233:234], s[44:45]
	v_add_f64 v[2:3], v[2:3], v[6:7]
	v_mul_f64 v[6:7], v[231:232], s[44:45]
	buffer_store_dword v4, off, s[60:63], 0 offset:456 ; 4-byte Folded Spill
	buffer_store_dword v5, off, s[60:63], 0 offset:460 ; 4-byte Folded Spill
	;; [unrolled: 1-line block ×6, first 2 shown]
	v_fma_f64 v[4:5], v[173:174], s[0:1], v[4:5]
	v_fma_f64 v[6:7], v[177:178], s[0:1], -v[6:7]
	v_add_f64 v[4:5], v[4:5], v[207:208]
	v_mul_f64 v[207:208], v[233:234], s[30:31]
	v_add_f64 v[6:7], v[6:7], v[209:210]
	v_mul_f64 v[209:210], v[231:232], s[30:31]
	v_fma_f64 v[211:212], v[173:174], s[14:15], v[207:208]
	v_add_f64 v[8:9], v[211:212], v[8:9]
	v_fma_f64 v[211:212], v[177:178], s[14:15], -v[209:210]
	v_add_f64 v[10:11], v[211:212], v[10:11]
	v_mul_f64 v[211:212], v[233:234], s[38:39]
	v_fma_f64 v[217:218], v[173:174], s[6:7], v[211:212]
	v_add_f64 v[12:13], v[217:218], v[12:13]
	v_fma_f64 v[217:218], v[177:178], s[6:7], -v[124:125]
	v_mul_f64 v[124:125], v[231:232], s[26:27]
	buffer_store_dword v124, off, s[60:63], 0 offset:480 ; 4-byte Folded Spill
	buffer_store_dword v125, off, s[60:63], 0 offset:484 ; 4-byte Folded Spill
	v_add_f64 v[14:15], v[217:218], v[14:15]
	v_mul_f64 v[217:218], v[233:234], s[26:27]
	v_mul_f64 v[231:232], v[231:232], s[36:37]
	s_waitcnt lgkmcnt(0)
	s_waitcnt_vscnt null, 0x0
	s_barrier
	buffer_gl0_inv
	buffer_store_dword v155, off, s[60:63], 0 ; 4-byte Folded Spill
	v_fma_f64 v[223:224], v[173:174], s[18:19], v[217:218]
	v_add_f64 v[16:17], v[223:224], v[16:17]
	v_fma_f64 v[223:224], v[177:178], s[18:19], -v[124:125]
	v_mul_lo_u16 v124, v155, 17
	buffer_store_dword v124, off, s[60:63], 0 offset:8 ; 4-byte Folded Spill
	v_add_f64 v[18:19], v[223:224], v[18:19]
	v_mul_f64 v[223:224], v[233:234], s[28:29]
	v_fma_f64 v[227:228], v[173:174], s[12:13], v[223:224]
	v_add_f64 v[88:89], v[227:228], v[88:89]
	v_fma_f64 v[227:228], v[177:178], s[12:13], -v[225:226]
	v_add_f64 v[90:91], v[227:228], v[90:91]
	v_mul_f64 v[227:228], v[233:234], s[24:25]
	v_mul_f64 v[233:234], v[233:234], s[36:37]
	v_fma_f64 v[239:240], v[173:174], s[22:23], v[227:228]
	v_add_f64 v[96:97], v[239:240], v[96:97]
	v_fma_f64 v[239:240], v[177:178], s[22:23], -v[229:230]
	v_add_f64 v[98:99], v[239:240], v[98:99]
	v_fma_f64 v[239:240], v[173:174], s[20:21], -v[233:234]
	v_fma_f64 v[233:234], v[173:174], s[20:21], v[233:234]
	v_add_f64 v[92:93], v[239:240], v[92:93]
	v_fma_f64 v[239:240], v[177:178], s[20:21], v[231:232]
	v_fma_f64 v[231:232], v[177:178], s[20:21], -v[231:232]
	v_add_f64 v[100:101], v[233:234], v[100:101]
	v_add_f64 v[94:95], v[239:240], v[94:95]
	;; [unrolled: 1-line block ×3, first 2 shown]
	s_and_saveexec_b32 s24, vcc_lo
	s_cbranch_execz .LBB0_7
; %bb.6:
	v_add_f64 v[58:59], v[30:31], v[58:59]
	v_add_f64 v[56:57], v[28:29], v[56:57]
	v_mul_f64 v[231:232], v[156:157], s[6:7]
	v_mul_f64 v[233:234], v[104:105], s[14:15]
	;; [unrolled: 1-line block ×3, first 2 shown]
	v_mov_b32_e32 v255, v167
	v_mul_f64 v[167:168], v[215:216], s[6:7]
	v_add_f64 v[58:59], v[62:63], v[58:59]
	v_add_f64 v[56:57], v[60:61], v[56:57]
	v_mul_f64 v[62:63], v[108:109], s[6:7]
	v_mul_f64 v[60:61], v[110:111], s[6:7]
	v_add_f64 v[112:113], v[112:113], v[239:240]
	v_mul_f64 v[239:240], v[189:190], s[0:1]
	v_add_f64 v[50:51], v[50:51], v[58:59]
	v_add_f64 v[48:49], v[48:49], v[56:57]
	v_mul_f64 v[56:57], v[110:111], s[12:13]
	v_mul_f64 v[58:59], v[108:109], s[12:13]
	v_add_f64 v[62:63], v[62:63], -v[144:145]
	v_add_f64 v[60:61], v[148:149], v[60:61]
	v_mov_b32_e32 v148, v251
	v_mov_b32_e32 v149, v252
	v_mul_f64 v[251:252], v[104:105], s[16:17]
	v_add_f64 v[50:51], v[54:55], v[50:51]
	v_add_f64 v[48:49], v[52:53], v[48:49]
	v_mul_f64 v[54:55], v[108:109], s[20:21]
	v_add_f64 v[56:57], v[20:21], v[56:57]
	v_add_f64 v[58:59], v[58:59], -v[175:176]
	v_add_f64 v[62:63], v[28:29], v[62:63]
	v_mul_f64 v[52:53], v[110:111], s[20:21]
	v_add_f64 v[60:61], v[30:31], v[60:61]
	v_add_f64 v[50:51], v[237:238], v[50:51]
	v_add_f64 v[48:49], v[235:236], v[48:49]
	v_add_f64 v[54:55], v[54:55], -v[26:27]
	v_add_f64 v[56:57], v[30:31], v[56:57]
	v_add_f64 v[58:59], v[28:29], v[58:59]
	v_mov_b32_e32 v236, v143
	v_add_f64 v[52:53], v[183:184], v[52:53]
	v_mov_b32_e32 v235, v142
	v_mov_b32_e32 v184, v147
	;; [unrolled: 1-line block ×7, first 2 shown]
	v_add_f64 v[50:51], v[74:75], v[50:51]
	v_add_f64 v[48:49], v[72:73], v[48:49]
	;; [unrolled: 1-line block ×6, first 2 shown]
	v_mul_f64 v[66:67], v[108:109], s[0:1]
	v_mul_f64 v[64:65], v[110:111], s[0:1]
	v_add_f64 v[50:51], v[78:79], v[50:51]
	v_add_f64 v[48:49], v[76:77], v[48:49]
	v_add_f64 v[66:67], v[66:67], -v[136:137]
	v_add_f64 v[64:65], v[140:141], v[64:65]
	v_add_f64 v[50:51], v[82:83], v[50:51]
	;; [unrolled: 1-line block ×9, first 2 shown]
	v_mul_f64 v[50:51], v[108:109], s[22:23]
	v_mul_f64 v[48:49], v[110:111], s[22:23]
	v_add_f64 v[42:43], v[42:43], v[46:47]
	v_add_f64 v[40:41], v[40:41], v[44:45]
	v_mul_f64 v[46:47], v[108:109], s[18:19]
	v_add_f64 v[50:51], v[50:51], -v[187:188]
	v_mul_f64 v[44:45], v[110:111], s[18:19]
	v_mov_b32_e32 v187, v205
	v_mov_b32_e32 v188, v206
	;; [unrolled: 1-line block ×4, first 2 shown]
	v_add_f64 v[48:49], v[68:69], v[48:49]
	v_mov_b32_e32 v68, v217
	v_mov_b32_e32 v69, v218
	;; [unrolled: 1-line block ×4, first 2 shown]
	v_add_f64 v[38:39], v[38:39], v[42:43]
	v_mul_f64 v[42:43], v[108:109], s[14:15]
	v_add_f64 v[36:37], v[36:37], v[40:41]
	v_add_f64 v[46:47], v[46:47], -v[241:242]
	v_add_f64 v[50:51], v[28:29], v[50:51]
	v_mul_f64 v[40:41], v[110:111], s[14:15]
	v_mul_f64 v[241:242], v[158:159], s[22:23]
	v_add_f64 v[44:45], v[245:246], v[44:45]
	v_mul_f64 v[245:246], v[106:107], s[16:17]
	v_add_f64 v[48:49], v[30:31], v[48:49]
	v_add_f64 v[20:21], v[34:35], v[38:39]
	v_add_f64 v[42:43], v[42:43], -v[247:248]
	v_mul_f64 v[34:35], v[70:71], s[16:17]
	v_add_f64 v[46:47], v[28:29], v[46:47]
	v_mul_f64 v[247:248], v[215:216], s[12:13]
	v_add_f64 v[40:41], v[249:250], v[40:41]
	;; [unrolled: 2-line block ×3, first 2 shown]
	buffer_store_dword v20, off, s[60:63], 0 offset:496 ; 4-byte Folded Spill
	buffer_store_dword v21, off, s[60:63], 0 offset:500 ; 4-byte Folded Spill
	v_add_f64 v[20:21], v[32:33], v[36:37]
	v_add_f64 v[42:43], v[28:29], v[42:43]
	v_mul_f64 v[28:29], v[177:178], s[22:23]
	v_add_f64 v[84:85], v[34:35], -v[163:164]
	v_mul_f64 v[34:35], v[215:216], s[0:1]
	v_add_f64 v[247:248], v[247:248], -v[253:254]
	v_mul_f64 v[253:254], v[185:186], s[0:1]
	v_add_f64 v[40:41], v[30:31], v[40:41]
	v_mov_b32_e32 v30, v207
	v_mov_b32_e32 v31, v208
	;; [unrolled: 1-line block ×4, first 2 shown]
	buffer_store_dword v20, off, s[60:63], 0 offset:504 ; 4-byte Folded Spill
	buffer_store_dword v21, off, s[60:63], 0 offset:508 ; 4-byte Folded Spill
	v_add_f64 v[20:21], v[229:230], v[28:29]
	v_mul_f64 v[28:29], v[132:133], s[6:7]
	v_add_f64 v[86:87], v[34:35], -v[122:123]
	v_mul_f64 v[34:35], v[185:186], s[18:19]
	v_mul_f64 v[229:230], v[215:216], s[16:17]
	buffer_store_dword v20, off, s[60:63], 0 offset:488 ; 4-byte Folded Spill
	buffer_store_dword v21, off, s[60:63], 0 offset:492 ; 4-byte Folded Spill
	s_clause 0x1
	buffer_load_dword v32, off, s[60:63], 0 offset:336
	buffer_load_dword v33, off, s[60:63], 0 offset:340
	v_add_f64 v[72:73], v[201:202], v[28:29]
	v_mul_f64 v[28:29], v[243:244], s[16:17]
	v_mul_f64 v[201:202], v[104:105], s[22:23]
	v_add_f64 v[114:115], v[229:230], -v[114:115]
	v_mul_f64 v[229:230], v[185:186], s[12:13]
	v_add_f64 v[74:75], v[169:170], v[28:29]
	v_mul_f64 v[28:29], v[219:220], s[0:1]
	v_add_f64 v[76:77], v[126:127], v[28:29]
	v_mul_f64 v[28:29], v[189:190], s[18:19]
	s_waitcnt vmcnt(0)
	v_add_f64 v[78:79], v[32:33], v[28:29]
	s_clause 0x1
	buffer_load_dword v32, off, s[60:63], 0 offset:224
	buffer_load_dword v33, off, s[60:63], 0 offset:228
	v_mul_f64 v[28:29], v[158:159], s[20:21]
	s_waitcnt vmcnt(0)
	v_add_f64 v[80:81], v[32:33], v[28:29]
	s_clause 0x1
	buffer_load_dword v32, off, s[60:63], 0 offset:112
	buffer_load_dword v33, off, s[60:63], 0 offset:116
	v_mul_f64 v[28:29], v[106:107], s[12:13]
	s_waitcnt vmcnt(0)
	v_add_f64 v[82:83], v[32:33], v[28:29]
	v_mul_f64 v[28:29], v[173:174], s[22:23]
	v_mul_f64 v[32:33], v[130:131], s[6:7]
	v_add_f64 v[40:41], v[82:83], v[40:41]
	v_add_f64 v[20:21], v[28:29], -v[227:228]
	v_mul_f64 v[227:228], v[106:107], s[14:15]
	v_mov_b32_e32 v26, v179
	v_mov_b32_e32 v27, v180
	;; [unrolled: 1-line block ×4, first 2 shown]
	v_mul_f64 v[82:83], v[70:71], s[0:1]
	buffer_store_dword v20, off, s[60:63], 0 offset:112 ; 4-byte Folded Spill
	buffer_store_dword v21, off, s[60:63], 0 offset:116 ; 4-byte Folded Spill
	v_add_f64 v[20:21], v[32:33], -v[199:200]
	v_mul_f64 v[199:200], v[156:157], s[0:1]
	v_mov_b32_e32 v32, v209
	v_mov_b32_e32 v33, v210
	;; [unrolled: 1-line block ×4, first 2 shown]
	v_add_f64 v[40:41], v[80:81], v[40:41]
	v_mul_f64 v[80:81], v[243:244], s[22:23]
	v_add_f64 v[82:83], v[82:83], -v[207:208]
	buffer_store_dword v20, off, s[60:63], 0 offset:224 ; 4-byte Folded Spill
	buffer_store_dword v21, off, s[60:63], 0 offset:228 ; 4-byte Folded Spill
	s_clause 0x1
	buffer_load_dword v36, off, s[60:63], 0 offset:328
	buffer_load_dword v37, off, s[60:63], 0 offset:332
	v_mov_b32_e32 v21, v19
	v_mov_b32_e32 v20, v18
	v_mov_b32_e32 v19, v17
	v_mov_b32_e32 v18, v16
	v_mov_b32_e32 v17, v15
	v_mov_b32_e32 v16, v14
	v_mov_b32_e32 v15, v13
	v_mov_b32_e32 v14, v12
	v_mov_b32_e32 v13, v11
	v_mov_b32_e32 v12, v10
	v_mov_b32_e32 v11, v9
	v_mov_b32_e32 v10, v8
	v_mov_b32_e32 v9, v7
	v_mov_b32_e32 v8, v6
	v_mov_b32_e32 v7, v5
	v_mov_b32_e32 v6, v4
	v_mov_b32_e32 v5, v3
	v_mov_b32_e32 v4, v2
	v_mov_b32_e32 v3, v1
	v_mov_b32_e32 v2, v0
	v_mov_b32_e32 v0, v171
	v_mov_b32_e32 v1, v172
	v_add_f64 v[40:41], v[78:79], v[40:41]
	v_mul_f64 v[78:79], v[70:71], s[22:23]
	v_add_f64 v[80:81], v[193:194], v[80:81]
	v_add_f64 v[40:41], v[76:77], v[40:41]
	v_add_f64 v[78:79], v[78:79], -v[209:210]
	v_mul_f64 v[76:77], v[243:244], s[18:19]
	v_add_f64 v[40:41], v[74:75], v[40:41]
	v_mul_f64 v[74:75], v[70:71], s[18:19]
	v_add_f64 v[76:77], v[191:192], v[76:77]
	v_add_f64 v[40:41], v[72:73], v[40:41]
	v_add_f64 v[74:75], v[74:75], -v[205:206]
	v_mul_f64 v[72:73], v[132:133], s[0:1]
	s_waitcnt vmcnt(0)
	v_add_f64 v[108:109], v[34:35], -v[36:37]
	s_clause 0x1
	buffer_load_dword v36, off, s[60:63], 0 offset:216
	buffer_load_dword v37, off, s[60:63], 0 offset:220
	v_mul_f64 v[34:35], v[156:157], s[20:21]
	s_waitcnt vmcnt(0)
	v_add_f64 v[110:111], v[34:35], -v[36:37]
	s_clause 0x3
	buffer_load_dword v36, off, s[60:63], 0 offset:104
	buffer_load_dword v37, off, s[60:63], 0 offset:108
	;; [unrolled: 1-line block ×4, first 2 shown]
	v_mul_f64 v[34:35], v[104:105], s[12:13]
	s_waitcnt vmcnt(2)
	v_add_f64 v[122:123], v[34:35], -v[36:37]
	v_mul_f64 v[36:37], v[132:133], s[16:17]
	v_mul_f64 v[34:35], v[177:178], s[12:13]
	v_add_f64 v[42:43], v[122:123], v[42:43]
	v_add_f64 v[126:127], v[197:198], v[36:37]
	v_mul_f64 v[36:37], v[243:244], s[6:7]
	v_add_f64 v[34:35], v[225:226], v[34:35]
	v_mul_f64 v[225:226], v[158:159], s[6:7]
	;; [unrolled: 2-line block ×5, first 2 shown]
	v_add_f64 v[110:111], v[213:214], v[110:111]
	v_add_f64 v[120:121], v[120:121], v[36:37]
	v_mul_f64 v[36:37], v[189:190], s[14:15]
	v_add_f64 v[42:43], v[86:87], v[42:43]
	v_add_f64 v[108:109], v[108:109], -v[0:1]
	v_mov_b32_e32 v0, v2
	v_mov_b32_e32 v1, v3
	s_waitcnt vmcnt(0)
	v_add_f64 v[163:164], v[38:39], v[36:37]
	s_clause 0x1
	buffer_load_dword v38, off, s[60:63], 0 offset:208
	buffer_load_dword v39, off, s[60:63], 0 offset:212
	v_mul_f64 v[36:37], v[158:159], s[0:1]
	v_mov_b32_e32 v2, v4
	v_mov_b32_e32 v3, v5
	;; [unrolled: 1-line block ×15, first 2 shown]
	v_add_f64 v[42:43], v[84:85], v[42:43]
	v_mov_b32_e32 v17, v19
	v_mov_b32_e32 v18, v20
	;; [unrolled: 1-line block ×3, first 2 shown]
	s_waitcnt vmcnt(0)
	v_add_f64 v[169:170], v[38:39], v[36:37]
	s_clause 0x3
	buffer_load_dword v38, off, s[60:63], 0 offset:96
	buffer_load_dword v39, off, s[60:63], 0 offset:100
	;; [unrolled: 1-line block ×4, first 2 shown]
	v_mul_f64 v[36:37], v[106:107], s[22:23]
	s_waitcnt vmcnt(2)
	v_add_f64 v[197:198], v[38:39], v[36:37]
	v_mul_f64 v[38:39], v[130:131], s[16:17]
	v_mul_f64 v[36:37], v[173:174], s[12:13]
	v_add_f64 v[44:45], v[197:198], v[44:45]
	v_add_f64 v[38:39], v[38:39], -v[195:196]
	v_mul_f64 v[195:196], v[70:71], s[6:7]
	v_add_f64 v[36:37], v[36:37], -v[223:224]
	v_mul_f64 v[223:224], v[219:220], s[16:17]
	v_add_f64 v[44:45], v[169:170], v[44:45]
	v_add_f64 v[150:151], v[195:196], -v[150:151]
	v_mul_f64 v[195:196], v[215:216], s[20:21]
	v_add_f64 v[116:117], v[116:117], v[223:224]
	v_mul_f64 v[223:224], v[189:190], s[12:13]
	v_add_f64 v[44:45], v[163:164], v[44:45]
	v_add_f64 v[118:119], v[195:196], -v[118:119]
	v_mul_f64 v[195:196], v[185:186], s[14:15]
	v_add_f64 v[44:45], v[120:121], v[44:45]
	s_waitcnt vmcnt(0)
	v_add_f64 v[195:196], v[195:196], -v[124:125]
	s_clause 0x1
	buffer_load_dword v124, off, s[60:63], 0 offset:200
	buffer_load_dword v125, off, s[60:63], 0 offset:204
	v_add_f64 v[44:45], v[161:162], v[44:45]
	v_add_f64 v[44:45], v[126:127], v[44:45]
	s_waitcnt vmcnt(0)
	v_add_f64 v[199:200], v[199:200], -v[124:125]
	s_clause 0x1
	buffer_load_dword v124, off, s[60:63], 0 offset:88
	buffer_load_dword v125, off, s[60:63], 0 offset:92
	s_waitcnt vmcnt(0)
	v_add_f64 v[201:202], v[201:202], -v[124:125]
	s_clause 0x1
	buffer_load_dword v124, off, s[60:63], 0 offset:304
	buffer_load_dword v125, off, s[60:63], 0 offset:308
	v_add_f64 v[46:47], v[201:202], v[46:47]
	v_add_f64 v[46:47], v[199:200], v[46:47]
	;; [unrolled: 1-line block ×4, first 2 shown]
	v_mul_f64 v[118:119], v[173:174], s[16:17]
	v_add_f64 v[46:47], v[150:151], v[46:47]
	s_waitcnt vmcnt(0)
	v_add_f64 v[223:224], v[124:125], v[223:224]
	s_clause 0x1
	buffer_load_dword v124, off, s[60:63], 0 offset:192
	buffer_load_dword v125, off, s[60:63], 0 offset:196
	s_waitcnt vmcnt(0)
	v_add_f64 v[225:226], v[124:125], v[225:226]
	s_clause 0x1
	buffer_load_dword v124, off, s[60:63], 0 offset:80
	buffer_load_dword v125, off, s[60:63], 0 offset:84
	;; [unrolled: 5-line block ×3, first 2 shown]
	v_add_f64 v[48:49], v[227:228], v[48:49]
	v_add_f64 v[48:49], v[225:226], v[48:49]
	;; [unrolled: 1-line block ×4, first 2 shown]
	v_mul_f64 v[116:117], v[177:178], s[16:17]
	s_waitcnt vmcnt(0)
	v_add_f64 v[229:230], v[229:230], -v[124:125]
	s_clause 0x1
	buffer_load_dword v124, off, s[60:63], 0 offset:184
	buffer_load_dword v125, off, s[60:63], 0 offset:188
	s_waitcnt vmcnt(0)
	v_add_f64 v[231:232], v[231:232], -v[124:125]
	s_clause 0x1
	buffer_load_dword v124, off, s[60:63], 0 offset:72
	buffer_load_dword v125, off, s[60:63], 0 offset:76
	;; [unrolled: 5-line block ×3, first 2 shown]
	v_add_f64 v[50:51], v[233:234], v[50:51]
	v_add_f64 v[50:51], v[231:232], v[50:51]
	v_add_f64 v[50:51], v[229:230], v[50:51]
	v_add_f64 v[50:51], v[114:115], v[50:51]
	s_waitcnt vmcnt(0)
	v_add_f64 v[239:240], v[124:125], v[239:240]
	s_clause 0x1
	buffer_load_dword v124, off, s[60:63], 0 offset:176
	buffer_load_dword v125, off, s[60:63], 0 offset:180
	s_waitcnt vmcnt(0)
	v_add_f64 v[241:242], v[124:125], v[241:242]
	s_clause 0x1
	buffer_load_dword v124, off, s[60:63], 0 offset:64
	buffer_load_dword v125, off, s[60:63], 0 offset:68
	;; [unrolled: 5-line block ×3, first 2 shown]
	v_add_f64 v[52:53], v[245:246], v[52:53]
	v_add_f64 v[52:53], v[241:242], v[52:53]
	;; [unrolled: 1-line block ×4, first 2 shown]
	v_mul_f64 v[112:113], v[132:133], s[14:15]
	s_waitcnt vmcnt(0)
	v_add_f64 v[253:254], v[253:254], -v[124:125]
	s_clause 0x1
	buffer_load_dword v124, off, s[60:63], 0 offset:168
	buffer_load_dword v125, off, s[60:63], 0 offset:172
	s_waitcnt vmcnt(0)
	v_add_f64 v[249:250], v[249:250], -v[124:125]
	s_clause 0x13
	buffer_load_dword v124, off, s[60:63], 0 offset:56
	buffer_load_dword v125, off, s[60:63], 0 offset:60
	;; [unrolled: 1-line block ×20, first 2 shown]
	s_waitcnt vmcnt(18)
	v_add_f64 v[251:252], v[251:252], -v[124:125]
	v_mul_f64 v[124:125], v[219:220], s[6:7]
	v_add_f64 v[54:55], v[251:252], v[54:55]
	s_waitcnt vmcnt(16)
	v_add_f64 v[124:125], v[128:129], v[124:125]
	v_mul_f64 v[128:129], v[189:190], s[22:23]
	v_add_f64 v[54:55], v[249:250], v[54:55]
	s_waitcnt vmcnt(14)
	v_add_f64 v[128:129], v[134:135], v[128:129]
	;; [unrolled: 4-line block ×4, first 2 shown]
	v_mul_f64 v[138:139], v[185:186], s[22:23]
	v_add_f64 v[56:57], v[136:137], v[56:57]
	s_waitcnt vmcnt(8)
	v_add_f64 v[138:139], v[138:139], -v[140:141]
	v_mul_f64 v[140:141], v[104:105], s[18:19]
	v_add_f64 v[56:57], v[134:135], v[56:57]
	s_waitcnt vmcnt(6)
	v_add_f64 v[140:141], v[140:141], -v[142:143]
	v_mul_f64 v[142:143], v[158:159], s[18:19]
	v_mul_f64 v[158:159], v[158:159], s[12:13]
	v_add_f64 v[56:57], v[128:129], v[56:57]
	v_add_f64 v[58:59], v[140:141], v[58:59]
	s_waitcnt vmcnt(4)
	v_add_f64 v[142:143], v[144:145], v[142:143]
	v_mul_f64 v[144:145], v[106:107], s[20:21]
	v_mul_f64 v[106:107], v[106:107], s[6:7]
	v_add_f64 v[56:57], v[124:125], v[56:57]
	s_waitcnt vmcnt(2)
	v_add_f64 v[144:145], v[146:147], v[144:145]
	v_mul_f64 v[146:147], v[104:105], s[20:21]
	v_mul_f64 v[104:105], v[104:105], s[6:7]
	v_add_f64 v[60:61], v[144:145], v[60:61]
	s_waitcnt vmcnt(0)
	v_add_f64 v[146:147], v[146:147], -v[152:153]
	s_clause 0x1
	buffer_load_dword v152, off, s[60:63], 0 offset:12
	buffer_load_dword v153, off, s[60:63], 0 offset:16
	v_add_f64 v[104:105], v[104:105], -v[148:149]
	v_mul_f64 v[148:149], v[156:157], s[18:19]
	v_add_f64 v[60:61], v[142:143], v[60:61]
	v_add_f64 v[62:63], v[146:147], v[62:63]
	;; [unrolled: 1-line block ×3, first 2 shown]
	s_waitcnt vmcnt(0)
	v_add_f64 v[106:107], v[152:153], v[106:107]
	s_clause 0x1
	buffer_load_dword v152, off, s[60:63], 0 offset:136
	buffer_load_dword v153, off, s[60:63], 0 offset:140
	v_add_f64 v[64:65], v[106:107], v[64:65]
	s_waitcnt vmcnt(0)
	v_add_f64 v[148:149], v[148:149], -v[152:153]
	s_clause 0x3
	buffer_load_dword v152, off, s[60:63], 0 offset:128
	buffer_load_dword v153, off, s[60:63], 0 offset:132
	;; [unrolled: 1-line block ×4, first 2 shown]
	v_add_f64 v[62:63], v[148:149], v[62:63]
	s_waitcnt vmcnt(2)
	v_add_f64 v[158:159], v[152:153], v[158:159]
	v_mul_f64 v[152:153], v[156:157], s[12:13]
	v_mul_f64 v[156:157], v[156:157], s[16:17]
	v_add_f64 v[64:65], v[158:159], v[64:65]
	s_waitcnt vmcnt(0)
	v_add_f64 v[152:153], v[152:153], -v[154:155]
	s_clause 0x5
	buffer_load_dword v154, off, s[60:63], 0 offset:144
	buffer_load_dword v155, off, s[60:63], 0 offset:148
	;; [unrolled: 1-line block ×6, first 2 shown]
	v_add_f64 v[66:67], v[152:153], v[66:67]
	s_waitcnt vmcnt(4)
	v_add_f64 v[156:157], v[156:157], -v[154:155]
	v_mul_f64 v[154:155], v[189:190], s[16:17]
	v_mul_f64 v[189:190], v[189:190], s[20:21]
	v_add_f64 v[58:59], v[156:157], v[58:59]
	s_waitcnt vmcnt(2)
	v_add_f64 v[154:155], v[165:166], v[154:155]
	v_mul_f64 v[165:166], v[185:186], s[16:17]
	v_mul_f64 v[185:186], v[185:186], s[20:21]
	v_add_f64 v[58:59], v[138:139], v[58:59]
	v_add_f64 v[60:61], v[154:155], v[60:61]
	s_waitcnt vmcnt(0)
	v_add_f64 v[165:166], v[165:166], -v[171:172]
	s_clause 0x1
	buffer_load_dword v171, off, s[60:63], 0 offset:240
	buffer_load_dword v172, off, s[60:63], 0 offset:244
	v_add_f64 v[62:63], v[165:166], v[62:63]
	s_waitcnt vmcnt(0)
	v_add_f64 v[189:190], v[171:172], v[189:190]
	s_clause 0x1
	buffer_load_dword v171, off, s[60:63], 0 offset:232
	buffer_load_dword v172, off, s[60:63], 0 offset:236
	v_add_f64 v[64:65], v[189:190], v[64:65]
	s_waitcnt vmcnt(0)
	v_add_f64 v[185:186], v[185:186], -v[171:172]
	s_clause 0x5
	buffer_load_dword v171, off, s[60:63], 0 offset:376
	buffer_load_dword v172, off, s[60:63], 0 offset:380
	;; [unrolled: 1-line block ×6, first 2 shown]
	v_add_f64 v[66:67], v[185:186], v[66:67]
	s_waitcnt vmcnt(4)
	v_add_f64 v[167:168], v[167:168], -v[171:172]
	v_mul_f64 v[171:172], v[219:220], s[14:15]
	v_mul_f64 v[219:220], v[219:220], s[22:23]
	v_add_f64 v[58:59], v[167:168], v[58:59]
	s_waitcnt vmcnt(2)
	v_add_f64 v[171:172], v[175:176], v[171:172]
	v_mul_f64 v[175:176], v[215:216], s[14:15]
	v_mul_f64 v[215:216], v[215:216], s[22:23]
	v_mov_b32_e32 v167, v255
	v_add_f64 v[58:59], v[82:83], v[58:59]
	v_add_f64 v[60:61], v[171:172], v[60:61]
	s_waitcnt vmcnt(0)
	v_add_f64 v[175:176], v[175:176], -v[179:180]
	s_clause 0x1
	buffer_load_dword v179, off, s[60:63], 0 offset:352
	buffer_load_dword v180, off, s[60:63], 0 offset:356
	v_mul_f64 v[82:83], v[173:174], s[6:7]
	v_add_f64 v[60:61], v[80:81], v[60:61]
	v_add_f64 v[62:63], v[175:176], v[62:63]
	v_mul_f64 v[80:81], v[130:131], s[12:13]
	v_add_f64 v[82:83], v[82:83], -v[237:238]
	v_add_f64 v[60:61], v[110:111], v[60:61]
	v_add_f64 v[62:63], v[78:79], v[62:63]
	v_mul_f64 v[78:79], v[177:178], s[6:7]
	v_mul_f64 v[110:111], v[173:174], s[0:1]
	v_add_f64 v[80:81], v[80:81], -v[217:218]
	v_add_f64 v[62:63], v[80:81], v[62:63]
	s_waitcnt vmcnt(0)
	v_add_f64 v[219:220], v[179:180], v[219:220]
	s_clause 0xf
	buffer_load_dword v179, off, s[60:63], 0 offset:344
	buffer_load_dword v180, off, s[60:63], 0 offset:348
	;; [unrolled: 1-line block ×16, first 2 shown]
	v_add_f64 v[64:65], v[219:220], v[64:65]
	v_add_f64 v[64:65], v[76:77], v[64:65]
	v_mul_f64 v[76:77], v[130:131], s[14:15]
	v_add_f64 v[76:77], v[76:77], -v[211:212]
	s_waitcnt vmcnt(14)
	v_add_f64 v[215:216], v[215:216], -v[179:180]
	v_mul_f64 v[179:180], v[243:244], s[20:21]
	s_waitcnt vmcnt(10)
	v_add_f64 v[72:73], v[84:85], v[72:73]
	v_mul_f64 v[84:85], v[130:131], s[0:1]
	s_waitcnt vmcnt(2)
	v_add_f64 v[112:113], v[114:115], v[112:113]
	v_mul_f64 v[114:115], v[177:178], s[0:1]
	v_add_f64 v[66:67], v[215:216], v[66:67]
	v_add_f64 v[179:180], v[181:182], v[179:180]
	v_mul_f64 v[181:182], v[70:71], s[20:21]
	v_add_f64 v[84:85], v[84:85], -v[86:87]
	v_mul_f64 v[86:87], v[132:133], s[18:19]
	v_add_f64 v[64:65], v[112:113], v[64:65]
	v_add_f64 v[66:67], v[74:75], v[66:67]
	v_mul_f64 v[74:75], v[177:178], s[18:19]
	v_add_f64 v[48:49], v[179:180], v[48:49]
	v_add_f64 v[181:182], v[181:182], -v[183:184]
	v_mul_f64 v[183:184], v[243:244], s[14:15]
	v_add_f64 v[86:87], v[104:105], v[86:87]
	v_mul_f64 v[104:105], v[130:131], s[18:19]
	v_add_f64 v[66:67], v[76:77], v[66:67]
	s_waitcnt vmcnt(0)
	v_add_f64 v[74:75], v[20:21], v[74:75]
	s_clause 0x1
	buffer_load_dword v20, off, s[60:63], 0 offset:472
	buffer_load_dword v21, off, s[60:63], 0 offset:476
	v_add_f64 v[48:49], v[72:73], v[48:49]
	v_mul_f64 v[72:73], v[173:174], s[18:19]
	v_add_f64 v[183:184], v[187:188], v[183:184]
	v_mul_f64 v[187:188], v[70:71], s[14:15]
	v_add_f64 v[104:105], v[104:105], -v[106:107]
	v_mul_f64 v[106:107], v[132:133], s[20:21]
	v_add_f64 v[50:51], v[181:182], v[50:51]
	v_add_f64 v[70:71], v[108:109], v[58:59]
	v_add_f64 v[72:73], v[72:73], -v[68:69]
	v_add_f64 v[52:53], v[183:184], v[52:53]
	v_add_f64 v[187:188], v[187:188], -v[235:236]
	v_mul_f64 v[235:236], v[243:244], s[0:1]
	v_add_f64 v[106:107], v[221:222], v[106:107]
	v_add_f64 v[80:81], v[84:85], v[50:51]
	;; [unrolled: 1-line block ×5, first 2 shown]
	v_mul_f64 v[86:87], v[177:178], s[14:15]
	v_add_f64 v[235:236], v[203:204], v[235:236]
	v_add_f64 v[38:39], v[72:73], v[80:81]
	v_add_f64 v[76:77], v[104:105], v[54:55]
	v_add_f64 v[86:87], v[32:33], v[86:87]
	v_add_f64 v[32:33], v[34:35], v[44:45]
	v_add_f64 v[56:57], v[235:236], v[56:57]
	v_add_f64 v[56:57], v[106:107], v[56:57]
	v_mul_f64 v[106:107], v[173:174], s[14:15]
	v_add_f64 v[106:107], v[106:107], -v[30:31]
	v_add_f64 v[30:31], v[36:37], v[84:85]
	v_add_f64 v[46:47], v[106:107], v[70:71]
	s_waitcnt vmcnt(0)
	v_add_f64 v[78:79], v[20:21], v[78:79]
	s_clause 0x1
	buffer_load_dword v20, off, s[60:63], 0 offset:464
	buffer_load_dword v21, off, s[60:63], 0 offset:468
	v_add_f64 v[44:45], v[78:79], v[52:53]
	s_waitcnt vmcnt(0)
	v_add_f64 v[114:115], v[20:21], v[114:115]
	s_clause 0x1
	buffer_load_dword v20, off, s[60:63], 0 offset:456
	buffer_load_dword v21, off, s[60:63], 0 offset:460
	v_add_f64 v[52:53], v[114:115], v[60:61]
	s_waitcnt vmcnt(0)
	v_add_f64 v[110:111], v[110:111], -v[20:21]
	s_clause 0x1
	buffer_load_dword v20, off, s[60:63], 0 offset:448
	buffer_load_dword v21, off, s[60:63], 0 offset:452
	v_add_f64 v[50:51], v[110:111], v[62:63]
	s_waitcnt vmcnt(0)
	v_add_f64 v[116:117], v[20:21], v[116:117]
	s_clause 0x1
	buffer_load_dword v20, off, s[60:63], 0 offset:440
	buffer_load_dword v21, off, s[60:63], 0 offset:444
	s_waitcnt vmcnt(0)
	v_add_f64 v[112:113], v[118:119], -v[20:21]
	s_clause 0x1
	buffer_load_dword v20, off, s[60:63], 0 offset:496
	buffer_load_dword v21, off, s[60:63], 0 offset:500
	v_add_f64 v[54:55], v[112:113], v[66:67]
	s_waitcnt vmcnt(0)
	v_add_f64 v[20:21], v[24:25], v[20:21]
	s_clause 0x1
	buffer_load_dword v24, off, s[60:63], 0 offset:504
	buffer_load_dword v25, off, s[60:63], 0 offset:508
	v_add_f64 v[60:61], v[28:29], v[20:21]
	s_waitcnt vmcnt(0)
	v_add_f64 v[68:69], v[22:23], v[24:25]
	;; [unrolled: 6-line block ×3, first 2 shown]
	s_clause 0x3
	buffer_load_dword v22, off, s[60:63], 0 offset:488
	buffer_load_dword v23, off, s[60:63], 0 offset:492
	;; [unrolled: 1-line block ×4, first 2 shown]
	v_add_f64 v[42:43], v[82:83], v[76:77]
	s_waitcnt vmcnt(2)
	v_add_f64 v[24:25], v[22:23], v[40:41]
	s_waitcnt vmcnt(0)
	v_add_f64 v[22:23], v[20:21], v[104:105]
	buffer_load_dword v20, off, s[60:63], 0 offset:8 ; 4-byte Folded Reload
	v_add_f64 v[40:41], v[74:75], v[48:49]
	v_add_f64 v[48:49], v[86:87], v[56:57]
	;; [unrolled: 1-line block ×3, first 2 shown]
	s_waitcnt vmcnt(0)
	v_and_b32_e32 v20, 0xffff, v20
	v_add_lshl_u32 v20, v167, v20, 4
	ds_write_b128 v20, v[58:61]
	ds_write_b128 v20, v[54:57] offset:16
	ds_write_b128 v20, v[50:53] offset:32
	;; [unrolled: 1-line block ×16, first 2 shown]
.LBB0_7:
	s_or_b32 exec_lo, exec_lo, s24
	buffer_load_dword v185, off, s[60:63], 0 ; 4-byte Folded Reload
	s_waitcnt vmcnt(0) lgkmcnt(0)
	s_waitcnt_vscnt null, 0x0
	s_barrier
	buffer_gl0_inv
	s_load_dwordx2 s[12:13], s[4:5], 0x8
	v_add_lshl_u32 v255, v167, v185, 4
	v_cmp_gt_u16_e64 s0, 51, v185
	ds_read_b128 v[32:35], v255
	ds_read_b128 v[36:39], v255 offset:1088
	ds_read_b128 v[52:55], v255 offset:2992
	;; [unrolled: 1-line block ×7, first 2 shown]
	s_and_saveexec_b32 s1, s0
	s_cbranch_execz .LBB0_9
; %bb.8:
	ds_read_b128 v[92:95], v255 offset:2176
	ds_read_b128 v[100:103], v255 offset:5168
	;; [unrolled: 1-line block ×4, first 2 shown]
.LBB0_9:
	s_or_b32 exec_lo, exec_lo, s1
	v_and_b32_e32 v20, 0xff, v185
	v_add_nc_u16 v21, v185, 0x44
	v_add_nc_u16 v24, v185, 0x88
	v_mul_lo_u16 v20, 0xf1, v20
	v_and_b32_e32 v22, 0xff, v21
	v_lshrrev_b16 v128, 12, v20
	v_mul_lo_u16 v20, 0xf1, v22
	v_mul_lo_u16 v22, v128, 17
	v_lshrrev_b16 v129, 12, v20
	v_sub_nc_u16 v20, v185, v22
	v_mul_lo_u16 v22, v129, 17
	v_and_b32_e32 v130, 0xff, v20
	v_sub_nc_u16 v22, v21, v22
	s_waitcnt lgkmcnt(0)
	v_mad_u64_u32 v[20:21], null, v130, 48, s[12:13]
	v_and_b32_e32 v131, 0xff, v22
	s_clause 0x2
	global_load_dwordx4 v[84:87], v[20:21], off
	global_load_dwordx4 v[80:83], v[20:21], off offset:16
	global_load_dwordx4 v[72:75], v[20:21], off offset:32
	v_mad_u64_u32 v[22:23], null, v131, 48, s[12:13]
	v_and_b32_e32 v20, 0xff, v24
	s_clause 0x2
	global_load_dwordx4 v[76:79], v[22:23], off
	global_load_dwordx4 v[68:71], v[22:23], off offset:16
	global_load_dwordx4 v[64:67], v[22:23], off offset:32
	v_mul_lo_u16 v20, 0xf1, v20
	v_lshrrev_b16 v20, 12, v20
	buffer_store_dword v20, off, s[60:63], 0 offset:12 ; 4-byte Folded Spill
	v_mul_lo_u16 v20, v20, 17
	v_sub_nc_u16 v20, v24, v20
	v_and_b32_e32 v20, 0xff, v20
	buffer_store_dword v20, off, s[60:63], 0 offset:20 ; 4-byte Folded Spill
	v_mad_u64_u32 v[20:21], null, v20, 48, s[12:13]
	s_clause 0x2
	global_load_dwordx4 v[28:31], v[20:21], off
	global_load_dwordx4 v[24:27], v[20:21], off offset:16
	global_load_dwordx4 v[20:23], v[20:21], off offset:32
	s_load_dwordx4 s[4:7], s[2:3], 0x0
	s_waitcnt vmcnt(0) lgkmcnt(0)
	s_waitcnt_vscnt null, 0x0
	s_barrier
	buffer_gl0_inv
	v_mul_f64 v[104:105], v[54:55], v[86:87]
	v_mul_f64 v[106:107], v[52:53], v[86:87]
	;; [unrolled: 1-line block ×12, first 2 shown]
	v_fma_f64 v[52:53], v[52:53], v[84:85], -v[104:105]
	v_fma_f64 v[54:55], v[54:55], v[84:85], v[106:107]
	v_fma_f64 v[56:57], v[56:57], v[80:81], -v[108:109]
	v_fma_f64 v[58:59], v[58:59], v[80:81], v[110:111]
	;; [unrolled: 2-line block ×6, first 2 shown]
	v_mul_f64 v[48:49], v[102:103], v[30:31]
	v_mul_f64 v[50:51], v[100:101], v[30:31]
	;; [unrolled: 1-line block ×5, first 2 shown]
	v_add_f64 v[114:115], v[32:33], -v[56:57]
	v_add_f64 v[116:117], v[34:35], -v[58:59]
	;; [unrolled: 1-line block ×7, first 2 shown]
	v_mul_f64 v[44:45], v[90:91], v[22:23]
	v_add_f64 v[122:123], v[106:107], -v[46:47]
	v_fma_f64 v[40:41], v[100:101], v[28:29], -v[48:49]
	v_fma_f64 v[42:43], v[102:103], v[28:29], v[50:51]
	v_fma_f64 v[46:47], v[96:97], v[24:25], -v[108:109]
	v_fma_f64 v[48:49], v[98:99], v[24:25], v[110:111]
	v_fma_f64 v[50:51], v[90:91], v[20:21], v[112:113]
	v_fma_f64 v[98:99], v[32:33], 2.0, -v[114:115]
	v_fma_f64 v[102:103], v[34:35], 2.0, -v[116:117]
	;; [unrolled: 1-line block ×7, first 2 shown]
	v_fma_f64 v[88:89], v[88:89], v[20:21], -v[44:45]
	v_fma_f64 v[96:97], v[106:107], 2.0, -v[122:123]
	v_mov_b32_e32 v44, 0x44
	v_mul_u32_u24_sdwa v63, v128, v44 dst_sel:DWORD dst_unused:UNUSED_PAD src0_sel:WORD_0 src1_sel:DWORD
	v_add_f64 v[32:33], v[92:93], -v[46:47]
	v_add_f64 v[34:35], v[94:95], -v[48:49]
	;; [unrolled: 1-line block ×4, first 2 shown]
	v_add_f64 v[47:48], v[116:117], v[56:57]
	v_add_f64 v[53:54], v[98:99], -v[52:53]
	v_add_f64 v[55:56], v[102:103], -v[90:91]
	;; [unrolled: 1-line block ×3, first 2 shown]
	v_add_f64 v[51:52], v[118:119], v[120:121]
	v_add_f64 v[57:58], v[108:109], -v[38:39]
	v_add_f64 v[38:39], v[40:41], -v[88:89]
	;; [unrolled: 1-line block ×4, first 2 shown]
	v_fma_f64 v[88:89], v[114:115], 2.0, -v[45:46]
	v_fma_f64 v[90:91], v[116:117], 2.0, -v[47:48]
	;; [unrolled: 1-line block ×6, first 2 shown]
	v_mul_u32_u24_sdwa v61, v129, v44 dst_sel:DWORD dst_unused:UNUSED_PAD src0_sel:WORD_0 src1_sel:DWORD
	v_fma_f64 v[108:109], v[108:109], 2.0, -v[57:58]
	v_add_f64 v[98:99], v[34:35], v[38:39]
	v_fma_f64 v[110:111], v[110:111], 2.0, -v[59:60]
	v_add_nc_u32_e32 v62, v63, v130
	v_add_nc_u32_e32 v61, v61, v131
	v_add_lshl_u32 v62, v167, v62, 4
	v_add_lshl_u32 v61, v167, v61, 4
	ds_write_b128 v62, v[45:48] offset:816
	ds_write_b128 v62, v[88:91] offset:272
	ds_write_b128 v62, v[53:56] offset:544
	buffer_store_dword v62, off, s[60:63], 0 offset:36 ; 4-byte Folded Spill
	ds_write_b128 v62, v[104:107]
	ds_write_b128 v61, v[100:103] offset:272
	ds_write_b128 v61, v[57:60] offset:544
	ds_write_b128 v61, v[108:111]
	buffer_store_dword v61, off, s[60:63], 0 offset:28 ; 4-byte Folded Spill
	ds_write_b128 v61, v[49:52] offset:816
	s_and_saveexec_b32 s1, s0
	s_cbranch_execz .LBB0_11
; %bb.10:
	v_fma_f64 v[45:46], v[94:95], 2.0, -v[34:35]
	v_fma_f64 v[36:37], v[42:43], 2.0, -v[36:37]
	;; [unrolled: 1-line block ×6, first 2 shown]
	v_add_f64 v[38:39], v[45:46], -v[36:37]
	v_add_f64 v[36:37], v[47:48], -v[40:41]
	v_fma_f64 v[42:43], v[45:46], 2.0, -v[38:39]
	buffer_load_dword v45, off, s[60:63], 0 offset:12 ; 4-byte Folded Reload
	v_fma_f64 v[40:41], v[47:48], 2.0, -v[36:37]
	s_waitcnt vmcnt(0)
	v_mul_u32_u24_sdwa v44, v45, v44 dst_sel:DWORD dst_unused:UNUSED_PAD src0_sel:WORD_0 src1_sel:DWORD
	buffer_load_dword v45, off, s[60:63], 0 offset:20 ; 4-byte Folded Reload
	s_waitcnt vmcnt(0)
	v_add_nc_u32_e32 v44, v44, v45
	v_add_lshl_u32 v44, v167, v44, 4
	ds_write_b128 v44, v[32:35] offset:272
	ds_write_b128 v44, v[36:39] offset:544
	ds_write_b128 v44, v[40:43]
	ds_write_b128 v44, v[96:99] offset:816
.LBB0_11:
	s_or_b32 exec_lo, exec_lo, s1
	v_mad_u64_u32 v[148:149], null, 0xa0, v185, s[12:13]
	s_waitcnt lgkmcnt(0)
	s_waitcnt_vscnt null, 0x0
	s_barrier
	buffer_gl0_inv
	ds_read_b128 v[104:107], v255
	ds_read_b128 v[44:47], v255 offset:1088
	ds_read_b128 v[48:51], v255 offset:2176
	;; [unrolled: 1-line block ×10, first 2 shown]
	s_mov_b32 s28, 0xf8bb580b
	s_mov_b32 s12, 0x43842ef
	s_clause 0x3
	global_load_dwordx4 v[32:35], v[148:149], off offset:864
	global_load_dwordx4 v[36:39], v[148:149], off offset:848
	;; [unrolled: 1-line block ×4, first 2 shown]
	s_mov_b32 s20, 0xbb3a28a1
	s_mov_b32 s26, 0xfd768dbf
	;; [unrolled: 1-line block ×24, first 2 shown]
	s_waitcnt vmcnt(0) lgkmcnt(9)
	v_mul_f64 v[108:109], v[46:47], v[62:63]
	v_fma_f64 v[150:151], v[44:45], v[60:61], -v[108:109]
	v_mul_f64 v[44:45], v[44:45], v[62:63]
	v_fma_f64 v[152:153], v[46:47], v[60:61], v[44:45]
	s_waitcnt lgkmcnt(8)
	v_mul_f64 v[44:45], v[50:51], v[42:43]
	v_fma_f64 v[134:135], v[48:49], v[40:41], -v[44:45]
	v_mul_f64 v[44:45], v[48:49], v[42:43]
	v_fma_f64 v[132:133], v[50:51], v[40:41], v[44:45]
	s_waitcnt lgkmcnt(7)
	;; [unrolled: 5-line block ×3, first 2 shown]
	v_mul_f64 v[44:45], v[58:59], v[34:35]
	v_fma_f64 v[120:121], v[56:57], v[32:33], -v[44:45]
	v_mul_f64 v[44:45], v[56:57], v[34:35]
	v_fma_f64 v[116:117], v[58:59], v[32:33], v[44:45]
	s_clause 0x3
	global_load_dwordx4 v[56:59], v[148:149], off offset:928
	global_load_dwordx4 v[52:55], v[148:149], off offset:912
	;; [unrolled: 1-line block ×4, first 2 shown]
	s_waitcnt vmcnt(0) lgkmcnt(5)
	v_mul_f64 v[108:109], v[90:91], v[50:51]
	v_fma_f64 v[112:113], v[88:89], v[48:49], -v[108:109]
	v_mul_f64 v[88:89], v[88:89], v[50:51]
	v_fma_f64 v[108:109], v[90:91], v[48:49], v[88:89]
	s_waitcnt lgkmcnt(4)
	v_mul_f64 v[88:89], v[94:95], v[46:47]
	v_fma_f64 v[114:115], v[92:93], v[44:45], -v[88:89]
	v_mul_f64 v[88:89], v[92:93], v[46:47]
	v_fma_f64 v[110:111], v[94:95], v[44:45], v[88:89]
	s_waitcnt lgkmcnt(3)
	;; [unrolled: 5-line block ×3, first 2 shown]
	v_mul_f64 v[88:89], v[138:139], v[58:59]
	v_add_f64 v[102:103], v[106:107], v[152:153]
	v_fma_f64 v[130:131], v[136:137], v[56:57], -v[88:89]
	v_mul_f64 v[88:89], v[136:137], v[58:59]
	v_add_f64 v[102:103], v[102:103], v[132:133]
	v_fma_f64 v[126:127], v[138:139], v[56:57], v[88:89]
	s_clause 0x1
	global_load_dwordx4 v[88:91], v[148:149], off offset:960
	global_load_dwordx4 v[92:95], v[148:149], off offset:944
	v_add_f64 v[102:103], v[102:103], v[124:125]
	v_add_f64 v[102:103], v[102:103], v[116:117]
	v_add_f64 v[102:103], v[102:103], v[108:109]
	v_add_f64 v[102:103], v[102:103], v[110:111]
	v_add_f64 v[102:103], v[102:103], v[118:119]
	v_add_f64 v[102:103], v[102:103], v[126:127]
	s_waitcnt vmcnt(0) lgkmcnt(1)
	v_mul_f64 v[100:101], v[142:143], v[94:95]
	v_fma_f64 v[138:139], v[140:141], v[92:93], -v[100:101]
	v_mul_f64 v[100:101], v[140:141], v[94:95]
	v_fma_f64 v[136:137], v[142:143], v[92:93], v[100:101]
	s_waitcnt lgkmcnt(0)
	v_mul_f64 v[100:101], v[146:147], v[90:91]
	v_add_f64 v[102:103], v[102:103], v[136:137]
	v_fma_f64 v[140:141], v[144:145], v[88:89], -v[100:101]
	v_mul_f64 v[100:101], v[144:145], v[90:91]
	v_add_f64 v[144:145], v[150:151], v[140:141]
	v_fma_f64 v[142:143], v[146:147], v[88:89], v[100:101]
	v_add_f64 v[100:101], v[104:105], v[150:151]
	v_add_f64 v[102:103], v[102:103], v[142:143]
	;; [unrolled: 1-line block ×4, first 2 shown]
	v_add_f64 v[142:143], v[152:153], -v[142:143]
	v_add_f64 v[100:101], v[100:101], v[128:129]
	v_mul_f64 v[148:149], v[142:143], s[28:29]
	v_mul_f64 v[156:157], v[142:143], s[14:15]
	;; [unrolled: 1-line block ×5, first 2 shown]
	v_add_f64 v[100:101], v[100:101], v[120:121]
	v_fma_f64 v[158:159], v[144:145], s[16:17], -v[156:157]
	v_fma_f64 v[156:157], v[144:145], s[16:17], v[156:157]
	v_fma_f64 v[167:168], v[144:145], s[2:3], -v[165:166]
	v_fma_f64 v[165:166], v[144:145], s[2:3], v[165:166]
	;; [unrolled: 2-line block ×4, first 2 shown]
	v_add_f64 v[100:101], v[100:101], v[112:113]
	v_add_f64 v[158:159], v[104:105], v[158:159]
	;; [unrolled: 1-line block ×13, first 2 shown]
	v_add_f64 v[140:141], v[150:151], -v[140:141]
	v_fma_f64 v[150:151], v[144:145], s[18:19], -v[148:149]
	v_fma_f64 v[148:149], v[144:145], s[18:19], v[148:149]
	v_mul_f64 v[152:153], v[140:141], s[28:29]
	v_mul_f64 v[161:162], v[140:141], s[14:15]
	;; [unrolled: 1-line block ×5, first 2 shown]
	v_add_f64 v[150:151], v[104:105], v[150:151]
	v_add_f64 v[148:149], v[104:105], v[148:149]
	;; [unrolled: 1-line block ×4, first 2 shown]
	v_add_f64 v[132:133], v[132:133], -v[136:137]
	v_fma_f64 v[154:155], v[146:147], s[18:19], v[152:153]
	v_fma_f64 v[152:153], v[146:147], s[18:19], -v[152:153]
	v_fma_f64 v[163:164], v[146:147], s[16:17], v[161:162]
	v_fma_f64 v[161:162], v[146:147], s[16:17], -v[161:162]
	;; [unrolled: 2-line block ×5, first 2 shown]
	v_mul_f64 v[136:137], v[132:133], s[14:15]
	v_add_f64 v[154:155], v[106:107], v[154:155]
	v_add_f64 v[152:153], v[106:107], v[152:153]
	;; [unrolled: 1-line block ×11, first 2 shown]
	v_add_f64 v[134:135], v[134:135], -v[138:139]
	v_fma_f64 v[138:139], v[140:141], s[16:17], -v[136:137]
	v_fma_f64 v[136:137], v[140:141], s[16:17], v[136:137]
	v_mul_f64 v[144:145], v[134:135], s[14:15]
	s_mov_b32 s15, 0x3fed1bb4
	v_add_f64 v[138:139], v[138:139], v[150:151]
	v_add_f64 v[136:137], v[136:137], v[148:149]
	v_mul_f64 v[148:149], v[132:133], s[20:21]
	v_fma_f64 v[146:147], v[142:143], s[16:17], v[144:145]
	v_fma_f64 v[144:145], v[142:143], s[16:17], -v[144:145]
	v_fma_f64 v[150:151], v[140:141], s[22:23], -v[148:149]
	v_fma_f64 v[148:149], v[140:141], s[22:23], v[148:149]
	v_add_f64 v[144:145], v[144:145], v[152:153]
	v_mul_f64 v[152:153], v[134:135], s[20:21]
	v_add_f64 v[146:147], v[146:147], v[154:155]
	v_add_f64 v[150:151], v[150:151], v[158:159]
	;; [unrolled: 1-line block ×3, first 2 shown]
	v_mul_f64 v[156:157], v[132:133], s[36:37]
	v_fma_f64 v[154:155], v[142:143], s[22:23], v[152:153]
	v_fma_f64 v[152:153], v[142:143], s[22:23], -v[152:153]
	v_fma_f64 v[158:159], v[140:141], s[24:25], -v[156:157]
	v_fma_f64 v[156:157], v[140:141], s[24:25], v[156:157]
	v_add_f64 v[152:153], v[152:153], v[161:162]
	v_mul_f64 v[161:162], v[134:135], s[36:37]
	v_add_f64 v[154:155], v[154:155], v[163:164]
	v_add_f64 v[158:159], v[158:159], v[167:168]
	;; [unrolled: 1-line block ×3, first 2 shown]
	v_mul_f64 v[165:166], v[132:133], s[34:35]
	v_fma_f64 v[163:164], v[142:143], s[24:25], v[161:162]
	v_fma_f64 v[161:162], v[142:143], s[24:25], -v[161:162]
	v_mul_f64 v[132:133], v[132:133], s[30:31]
	v_fma_f64 v[167:168], v[140:141], s[2:3], -v[165:166]
	v_fma_f64 v[165:166], v[140:141], s[2:3], v[165:166]
	v_add_f64 v[161:162], v[161:162], v[169:170]
	v_mul_f64 v[169:170], v[134:135], s[34:35]
	v_mul_f64 v[134:135], v[134:135], s[30:31]
	v_add_f64 v[163:164], v[163:164], v[171:172]
	v_add_f64 v[167:168], v[167:168], v[175:176]
	;; [unrolled: 1-line block ×3, first 2 shown]
	v_fma_f64 v[173:174], v[140:141], s[18:19], -v[132:133]
	v_fma_f64 v[132:133], v[140:141], s[18:19], v[132:133]
	v_fma_f64 v[175:176], v[142:143], s[18:19], v[134:135]
	;; [unrolled: 1-line block ×3, first 2 shown]
	v_fma_f64 v[169:170], v[142:143], s[2:3], -v[169:170]
	v_add_f64 v[173:174], v[173:174], v[181:182]
	v_add_f64 v[104:105], v[132:133], v[104:105]
	v_fma_f64 v[132:133], v[142:143], s[18:19], -v[134:135]
	v_add_f64 v[134:135], v[124:125], v[126:127]
	v_add_f64 v[124:125], v[124:125], -v[126:127]
	v_add_f64 v[171:172], v[171:172], v[179:180]
	v_add_f64 v[169:170], v[169:170], v[177:178]
	;; [unrolled: 1-line block ×5, first 2 shown]
	v_mul_f64 v[126:127], v[124:125], s[12:13]
	v_add_f64 v[128:129], v[128:129], -v[130:131]
	v_fma_f64 v[130:131], v[132:133], s[2:3], -v[126:127]
	v_fma_f64 v[126:127], v[132:133], s[2:3], v[126:127]
	v_add_f64 v[130:131], v[130:131], v[138:139]
	v_mul_f64 v[138:139], v[128:129], s[12:13]
	v_add_f64 v[126:127], v[126:127], v[136:137]
	v_fma_f64 v[140:141], v[134:135], s[2:3], v[138:139]
	v_fma_f64 v[136:137], v[134:135], s[2:3], -v[138:139]
	v_mul_f64 v[138:139], v[124:125], s[36:37]
	v_add_f64 v[140:141], v[140:141], v[146:147]
	v_add_f64 v[136:137], v[136:137], v[144:145]
	v_fma_f64 v[142:143], v[132:133], s[24:25], -v[138:139]
	v_fma_f64 v[138:139], v[132:133], s[24:25], v[138:139]
	v_mul_f64 v[144:145], v[128:129], s[36:37]
	v_add_f64 v[142:143], v[142:143], v[150:151]
	v_add_f64 v[138:139], v[138:139], v[148:149]
	v_mul_f64 v[148:149], v[124:125], s[14:15]
	v_fma_f64 v[146:147], v[134:135], s[24:25], v[144:145]
	v_fma_f64 v[144:145], v[134:135], s[24:25], -v[144:145]
	v_fma_f64 v[150:151], v[132:133], s[16:17], -v[148:149]
	v_fma_f64 v[148:149], v[132:133], s[16:17], v[148:149]
	v_add_f64 v[144:145], v[144:145], v[152:153]
	v_mul_f64 v[152:153], v[128:129], s[14:15]
	v_add_f64 v[146:147], v[146:147], v[154:155]
	v_add_f64 v[150:151], v[150:151], v[158:159]
	v_add_f64 v[148:149], v[148:149], v[156:157]
	v_mul_f64 v[156:157], v[124:125], s[28:29]
	v_fma_f64 v[154:155], v[134:135], s[16:17], v[152:153]
	v_fma_f64 v[152:153], v[134:135], s[16:17], -v[152:153]
	v_mul_f64 v[124:125], v[124:125], s[20:21]
	v_fma_f64 v[158:159], v[132:133], s[18:19], -v[156:157]
	v_fma_f64 v[156:157], v[132:133], s[18:19], v[156:157]
	v_add_f64 v[152:153], v[152:153], v[161:162]
	v_mul_f64 v[161:162], v[128:129], s[28:29]
	v_mul_f64 v[128:129], v[128:129], s[20:21]
	v_add_f64 v[154:155], v[154:155], v[163:164]
	v_add_f64 v[158:159], v[158:159], v[167:168]
	;; [unrolled: 1-line block ×3, first 2 shown]
	v_fma_f64 v[165:166], v[132:133], s[22:23], -v[124:125]
	v_fma_f64 v[124:125], v[132:133], s[22:23], v[124:125]
	v_fma_f64 v[167:168], v[134:135], s[22:23], v[128:129]
	;; [unrolled: 1-line block ×3, first 2 shown]
	v_fma_f64 v[161:162], v[134:135], s[18:19], -v[161:162]
	v_add_f64 v[165:166], v[165:166], v[173:174]
	v_add_f64 v[104:105], v[124:125], v[104:105]
	v_fma_f64 v[124:125], v[134:135], s[22:23], -v[128:129]
	v_add_f64 v[128:129], v[116:117], v[118:119]
	v_add_f64 v[116:117], v[116:117], -v[118:119]
	v_add_f64 v[163:164], v[163:164], v[171:172]
	v_add_f64 v[161:162], v[161:162], v[169:170]
	;; [unrolled: 1-line block ×5, first 2 shown]
	v_mul_f64 v[118:119], v[116:117], s[20:21]
	v_add_f64 v[120:121], v[120:121], -v[122:123]
	v_fma_f64 v[122:123], v[124:125], s[22:23], -v[118:119]
	v_fma_f64 v[118:119], v[124:125], s[22:23], v[118:119]
	v_add_f64 v[122:123], v[122:123], v[130:131]
	v_mul_f64 v[130:131], v[120:121], s[20:21]
	v_add_f64 v[118:119], v[118:119], v[126:127]
	v_fma_f64 v[126:127], v[128:129], s[22:23], -v[130:131]
	v_fma_f64 v[132:133], v[128:129], s[22:23], v[130:131]
	v_mul_f64 v[130:131], v[116:117], s[34:35]
	v_add_f64 v[126:127], v[126:127], v[136:137]
	v_mul_f64 v[136:137], v[120:121], s[34:35]
	v_add_f64 v[132:133], v[132:133], v[140:141]
	v_fma_f64 v[134:135], v[124:125], s[2:3], -v[130:131]
	v_fma_f64 v[130:131], v[124:125], s[2:3], v[130:131]
	v_fma_f64 v[140:141], v[128:129], s[2:3], v[136:137]
	v_fma_f64 v[136:137], v[128:129], s[2:3], -v[136:137]
	v_add_f64 v[134:135], v[134:135], v[142:143]
	v_add_f64 v[130:131], v[130:131], v[138:139]
	;; [unrolled: 1-line block ×4, first 2 shown]
	v_mul_f64 v[136:137], v[116:117], s[28:29]
	v_add_f64 v[146:147], v[112:113], v[114:115]
	v_add_f64 v[144:145], v[108:109], v[110:111]
	v_fma_f64 v[138:139], v[124:125], s[18:19], -v[136:137]
	v_fma_f64 v[136:137], v[124:125], s[18:19], v[136:137]
	v_add_f64 v[150:151], v[138:139], v[150:151]
	v_mul_f64 v[138:139], v[120:121], s[28:29]
	v_add_f64 v[173:174], v[136:137], v[148:149]
	v_add_f64 v[148:149], v[112:113], -v[114:115]
	v_fma_f64 v[136:137], v[128:129], s[18:19], -v[138:139]
	v_fma_f64 v[140:141], v[128:129], s[18:19], v[138:139]
	v_add_f64 v[152:153], v[136:137], v[152:153]
	v_mul_f64 v[136:137], v[116:117], s[26:27]
	v_mul_f64 v[116:117], v[116:117], s[14:15]
	v_add_f64 v[154:155], v[140:141], v[154:155]
	v_fma_f64 v[138:139], v[124:125], s[24:25], -v[136:137]
	v_fma_f64 v[136:137], v[124:125], s[24:25], v[136:137]
	v_add_f64 v[158:159], v[138:139], v[158:159]
	v_mul_f64 v[138:139], v[120:121], s[26:27]
	v_add_f64 v[156:157], v[136:137], v[156:157]
	v_mul_f64 v[120:121], v[120:121], s[14:15]
	v_fma_f64 v[136:137], v[128:129], s[24:25], -v[138:139]
	v_fma_f64 v[140:141], v[128:129], s[24:25], v[138:139]
	v_fma_f64 v[138:139], v[128:129], s[16:17], v[120:121]
	v_add_f64 v[161:162], v[136:137], v[161:162]
	v_fma_f64 v[136:137], v[124:125], s[16:17], -v[116:117]
	v_fma_f64 v[116:117], v[124:125], s[16:17], v[116:117]
	v_add_f64 v[163:164], v[140:141], v[163:164]
	v_add_f64 v[138:139], v[138:139], v[167:168]
	;; [unrolled: 1-line block ×3, first 2 shown]
	v_add_f64 v[165:166], v[108:109], -v[110:111]
	v_add_f64 v[140:141], v[116:117], v[104:105]
	v_fma_f64 v[104:105], v[128:129], s[16:17], -v[120:121]
	v_mul_f64 v[112:113], v[165:166], s[30:31]
	v_add_f64 v[142:143], v[104:105], v[106:107]
	v_mul_f64 v[104:105], v[165:166], s[26:27]
	v_fma_f64 v[114:115], v[146:147], s[18:19], -v[112:113]
	v_fma_f64 v[112:113], v[146:147], s[18:19], v[112:113]
	v_fma_f64 v[106:107], v[146:147], s[24:25], -v[104:105]
	v_fma_f64 v[104:105], v[146:147], s[24:25], v[104:105]
	v_add_f64 v[120:121], v[114:115], v[134:135]
	v_mul_f64 v[114:115], v[148:149], s[30:31]
	v_add_f64 v[112:113], v[112:113], v[130:131]
	v_add_f64 v[108:109], v[106:107], v[122:123]
	v_mul_f64 v[106:107], v[148:149], s[26:27]
	v_add_f64 v[104:105], v[104:105], v[118:119]
	v_fma_f64 v[116:117], v[144:145], s[18:19], v[114:115]
	v_fma_f64 v[114:115], v[144:145], s[18:19], -v[114:115]
	v_fma_f64 v[110:111], v[144:145], s[24:25], v[106:107]
	v_fma_f64 v[106:107], v[144:145], s[24:25], -v[106:107]
	v_add_f64 v[122:123], v[116:117], v[169:170]
	v_mul_f64 v[116:117], v[165:166], s[20:21]
	v_add_f64 v[114:115], v[114:115], v[171:172]
	v_add_f64 v[110:111], v[110:111], v[132:133]
	;; [unrolled: 1-line block ×3, first 2 shown]
	v_fma_f64 v[118:119], v[146:147], s[22:23], -v[116:117]
	v_fma_f64 v[116:117], v[146:147], s[22:23], v[116:117]
	v_add_f64 v[132:133], v[118:119], v[150:151]
	v_mul_f64 v[118:119], v[148:149], s[20:21]
	v_mul_f64 v[150:151], v[165:166], s[12:13]
	v_add_f64 v[116:117], v[116:117], v[173:174]
	v_fma_f64 v[124:125], v[144:145], s[22:23], v[118:119]
	v_fma_f64 v[118:119], v[144:145], s[22:23], -v[118:119]
	v_add_f64 v[134:135], v[124:125], v[154:155]
	v_mul_f64 v[124:125], v[165:166], s[14:15]
	v_add_f64 v[118:119], v[118:119], v[152:153]
	v_fma_f64 v[152:153], v[146:147], s[2:3], -v[150:151]
	v_fma_f64 v[126:127], v[146:147], s[16:17], -v[124:125]
	v_fma_f64 v[124:125], v[146:147], s[16:17], v[124:125]
	v_add_f64 v[136:137], v[152:153], v[136:137]
	v_fma_f64 v[146:147], v[146:147], s[2:3], v[150:151]
	v_add_f64 v[128:129], v[126:127], v[158:159]
	v_mul_f64 v[126:127], v[148:149], s[14:15]
	v_mul_f64 v[148:149], v[148:149], s[12:13]
	v_add_f64 v[124:125], v[124:125], v[156:157]
	v_add_f64 v[140:141], v[146:147], v[140:141]
	v_fma_f64 v[130:131], v[144:145], s[16:17], v[126:127]
	v_fma_f64 v[126:127], v[144:145], s[16:17], -v[126:127]
	v_fma_f64 v[152:153], v[144:145], s[2:3], v[148:149]
	v_fma_f64 v[144:145], v[144:145], s[2:3], -v[148:149]
	v_add_f64 v[130:131], v[130:131], v[163:164]
	v_add_f64 v[126:127], v[126:127], v[161:162]
	;; [unrolled: 1-line block ×4, first 2 shown]
	buffer_load_dword v144, off, s[60:63], 0 offset:4 ; 4-byte Folded Reload
	s_waitcnt vmcnt(0)
	v_lshl_add_u32 v195, v185, 4, v144
	ds_write_b128 v195, v[100:103]
	ds_write_b128 v195, v[108:111] offset:1088
	ds_write_b128 v195, v[120:123] offset:2176
	;; [unrolled: 1-line block ×10, first 2 shown]
	s_waitcnt lgkmcnt(0)
	s_barrier
	buffer_gl0_inv
	s_and_saveexec_b32 s12, vcc_lo
	s_cbranch_execz .LBB0_13
; %bb.12:
	buffer_load_dword v144, off, s[60:63], 0 ; 4-byte Folded Reload
	s_add_u32 s2, s8, 0x2ec0
	s_addc_u32 s3, s9, 0
	ds_read_b128 v[146:149], v195
	s_waitcnt vmcnt(0)
	v_lshlrev_b32_e32 v161, 4, v144
	global_load_dwordx4 v[150:153], v161, s[2:3]
	v_add_co_u32 v144, s1, s2, v161
	v_add_co_ci_u32_e64 v145, null, s3, 0, s1
	v_add_co_u32 v158, s1, 0x800, v144
	v_add_co_ci_u32_e64 v159, s1, 0, v145, s1
	s_waitcnt vmcnt(0) lgkmcnt(0)
	v_mul_f64 v[154:155], v[148:149], v[152:153]
	v_fma_f64 v[154:155], v[146:147], v[150:151], -v[154:155]
	v_mul_f64 v[146:147], v[146:147], v[152:153]
	v_fma_f64 v[156:157], v[148:149], v[150:151], v[146:147]
	global_load_dwordx4 v[150:153], v161, s[2:3] offset:704
	ds_read_b128 v[146:149], v195 offset:704
	ds_write_b128 v195, v[154:157]
	s_waitcnt vmcnt(0) lgkmcnt(1)
	v_mul_f64 v[154:155], v[148:149], v[152:153]
	v_fma_f64 v[154:155], v[146:147], v[150:151], -v[154:155]
	v_mul_f64 v[146:147], v[146:147], v[152:153]
	v_fma_f64 v[156:157], v[148:149], v[150:151], v[146:147]
	global_load_dwordx4 v[150:153], v161, s[2:3] offset:1408
	ds_read_b128 v[146:149], v195 offset:1408
	ds_write_b128 v195, v[154:157] offset:704
	s_waitcnt vmcnt(0) lgkmcnt(1)
	v_mul_f64 v[154:155], v[148:149], v[152:153]
	v_fma_f64 v[154:155], v[146:147], v[150:151], -v[154:155]
	v_mul_f64 v[146:147], v[146:147], v[152:153]
	v_fma_f64 v[156:157], v[148:149], v[150:151], v[146:147]
	global_load_dwordx4 v[150:153], v[158:159], off offset:64
	ds_read_b128 v[146:149], v195 offset:2112
	ds_write_b128 v195, v[154:157] offset:1408
	s_waitcnt vmcnt(0) lgkmcnt(1)
	v_mul_f64 v[154:155], v[148:149], v[152:153]
	v_fma_f64 v[154:155], v[146:147], v[150:151], -v[154:155]
	v_mul_f64 v[146:147], v[146:147], v[152:153]
	v_fma_f64 v[156:157], v[148:149], v[150:151], v[146:147]
	global_load_dwordx4 v[150:153], v[158:159], off offset:768
	;; [unrolled: 8-line block ×3, first 2 shown]
	ds_read_b128 v[146:149], v195 offset:3520
	v_add_co_u32 v158, s1, 0x1000, v144
	v_add_co_ci_u32_e64 v159, s1, 0, v145, s1
	ds_write_b128 v195, v[154:157] offset:2816
	s_waitcnt vmcnt(0) lgkmcnt(1)
	v_mul_f64 v[154:155], v[148:149], v[152:153]
	v_fma_f64 v[154:155], v[146:147], v[150:151], -v[154:155]
	v_mul_f64 v[146:147], v[146:147], v[152:153]
	v_fma_f64 v[156:157], v[148:149], v[150:151], v[146:147]
	global_load_dwordx4 v[150:153], v[158:159], off offset:128
	ds_read_b128 v[146:149], v195 offset:4224
	ds_write_b128 v195, v[154:157] offset:3520
	s_waitcnt vmcnt(0) lgkmcnt(1)
	v_mul_f64 v[154:155], v[148:149], v[152:153]
	v_fma_f64 v[154:155], v[146:147], v[150:151], -v[154:155]
	v_mul_f64 v[146:147], v[146:147], v[152:153]
	v_fma_f64 v[156:157], v[148:149], v[150:151], v[146:147]
	global_load_dwordx4 v[150:153], v[158:159], off offset:832
	ds_read_b128 v[146:149], v195 offset:4928
	;; [unrolled: 8-line block ×3, first 2 shown]
	v_add_co_u32 v158, s1, 0x1800, v144
	v_add_co_ci_u32_e64 v159, s1, 0, v145, s1
	ds_write_b128 v195, v[154:157] offset:4928
	s_waitcnt vmcnt(0) lgkmcnt(1)
	v_mul_f64 v[154:155], v[148:149], v[152:153]
	v_fma_f64 v[154:155], v[146:147], v[150:151], -v[154:155]
	v_mul_f64 v[146:147], v[146:147], v[152:153]
	v_fma_f64 v[156:157], v[148:149], v[150:151], v[146:147]
	global_load_dwordx4 v[150:153], v[158:159], off offset:192
	ds_read_b128 v[146:149], v195 offset:6336
	ds_write_b128 v195, v[154:157] offset:5632
	s_waitcnt vmcnt(0) lgkmcnt(1)
	v_mul_f64 v[154:155], v[148:149], v[152:153]
	v_fma_f64 v[154:155], v[146:147], v[150:151], -v[154:155]
	v_mul_f64 v[146:147], v[146:147], v[152:153]
	v_fma_f64 v[156:157], v[148:149], v[150:151], v[146:147]
	global_load_dwordx4 v[150:153], v[158:159], off offset:896
	ds_read_b128 v[146:149], v195 offset:7040
	;; [unrolled: 8-line block ×3, first 2 shown]
	v_add_co_u32 v158, s1, 0x2000, v144
	v_add_co_ci_u32_e64 v159, s1, 0, v145, s1
	v_add_co_u32 v144, s1, 0x2800, v144
	v_add_co_ci_u32_e64 v145, s1, 0, v145, s1
	ds_write_b128 v195, v[154:157] offset:7040
	s_waitcnt vmcnt(0) lgkmcnt(1)
	v_mul_f64 v[154:155], v[148:149], v[152:153]
	v_fma_f64 v[154:155], v[146:147], v[150:151], -v[154:155]
	v_mul_f64 v[146:147], v[146:147], v[152:153]
	v_fma_f64 v[156:157], v[148:149], v[150:151], v[146:147]
	global_load_dwordx4 v[150:153], v[158:159], off offset:256
	ds_read_b128 v[146:149], v195 offset:8448
	ds_write_b128 v195, v[154:157] offset:7744
	s_waitcnt vmcnt(0) lgkmcnt(1)
	v_mul_f64 v[154:155], v[148:149], v[152:153]
	v_fma_f64 v[154:155], v[146:147], v[150:151], -v[154:155]
	v_mul_f64 v[146:147], v[146:147], v[152:153]
	v_fma_f64 v[156:157], v[148:149], v[150:151], v[146:147]
	global_load_dwordx4 v[150:153], v[158:159], off offset:960
	ds_read_b128 v[146:149], v195 offset:9152
	;; [unrolled: 8-line block ×4, first 2 shown]
	ds_write_b128 v195, v[154:157] offset:9856
	s_waitcnt vmcnt(0) lgkmcnt(1)
	v_mul_f64 v[144:145], v[148:149], v[152:153]
	v_fma_f64 v[144:145], v[146:147], v[150:151], -v[144:145]
	v_mul_f64 v[146:147], v[146:147], v[152:153]
	v_fma_f64 v[146:147], v[148:149], v[150:151], v[146:147]
	v_or_b32_e32 v148, 0x2c00, v161
	global_load_dwordx4 v[148:151], v148, s[2:3]
	ds_write_b128 v195, v[144:147] offset:10560
	ds_read_b128 v[144:147], v195 offset:11264
	s_waitcnt vmcnt(0) lgkmcnt(0)
	v_mul_f64 v[152:153], v[146:147], v[150:151]
	v_fma_f64 v[152:153], v[144:145], v[148:149], -v[152:153]
	v_mul_f64 v[144:145], v[144:145], v[150:151]
	v_fma_f64 v[154:155], v[146:147], v[148:149], v[144:145]
	ds_write_b128 v195, v[152:155] offset:11264
.LBB0_13:
	s_or_b32 exec_lo, exec_lo, s12
	s_waitcnt lgkmcnt(0)
	s_barrier
	buffer_gl0_inv
	s_and_saveexec_b32 s1, vcc_lo
	s_cbranch_execz .LBB0_15
; %bb.14:
	ds_read_b128 v[100:103], v195
	ds_read_b128 v[108:111], v195 offset:704
	ds_read_b128 v[120:123], v195 offset:1408
	;; [unrolled: 1-line block ×16, first 2 shown]
.LBB0_15:
	s_or_b32 exec_lo, exec_lo, s1
	s_waitcnt lgkmcnt(0)
	v_add_f64 v[183:184], v[110:111], -v[2:3]
	s_mov_b32 s20, 0x6c9a05f6
	s_mov_b32 s21, 0xbfe9895b
	v_add_f64 v[177:178], v[2:3], v[110:111]
	v_add_f64 v[167:168], v[122:123], -v[6:7]
	s_mov_b32 s14, 0x6ed5f1bb
	s_mov_b32 s2, 0x910ea3b9
	;; [unrolled: 1-line block ×8, first 2 shown]
	v_add_f64 v[163:164], v[6:7], v[122:123]
	s_mov_b32 s28, 0xc61f0d01
	s_mov_b32 s29, 0xbfd183b1
	v_add_f64 v[175:176], v[0:1], v[108:109]
	v_add_f64 v[181:182], v[108:109], -v[0:1]
	v_add_f64 v[161:162], v[4:5], v[120:121]
	v_add_f64 v[165:166], v[120:121], -v[4:5]
	s_mov_b32 s30, 0x7c9e640b
	s_mov_b32 s31, 0x3feca52d
	v_mul_f64 v[144:145], v[183:184], s[20:21]
	v_mul_f64 v[148:149], v[183:184], s[16:17]
	s_mov_b32 s24, 0x2b2883cd
	v_mul_f64 v[146:147], v[177:178], s[14:15]
	v_mul_f64 v[150:151], v[177:178], s[2:3]
	;; [unrolled: 1-line block ×3, first 2 shown]
	s_mov_b32 s25, 0x3fdc86fa
	s_mov_b32 s18, 0xacd6c6b4
	;; [unrolled: 1-line block ×4, first 2 shown]
	v_mul_f64 v[152:153], v[183:184], s[18:19]
	s_mov_b32 s26, 0x5d8e7cdc
	s_mov_b32 s13, 0xbfef7484
	v_mul_f64 v[171:172], v[163:164], s[28:29]
	s_mov_b32 s27, 0x3fd71e95
	s_mov_b32 s22, 0x370991
	;; [unrolled: 1-line block ×3, first 2 shown]
	v_add_f64 v[179:180], v[134:135], -v[10:11]
	s_mov_b32 s39, 0xbfd71e95
	s_mov_b32 s38, s26
	v_mul_f64 v[156:157], v[177:178], s[12:13]
	s_mov_b32 s37, 0x3fc7851a
	buffer_store_dword v144, off, s[60:63], 0 offset:48 ; 4-byte Folded Spill
	buffer_store_dword v145, off, s[60:63], 0 offset:52 ; 4-byte Folded Spill
	buffer_store_dword v146, off, s[60:63], 0 offset:56 ; 4-byte Folded Spill
	buffer_store_dword v147, off, s[60:63], 0 offset:60 ; 4-byte Folded Spill
	buffer_store_dword v148, off, s[60:63], 0 offset:64 ; 4-byte Folded Spill
	buffer_store_dword v149, off, s[60:63], 0 offset:68 ; 4-byte Folded Spill
	buffer_store_dword v150, off, s[60:63], 0 offset:72 ; 4-byte Folded Spill
	buffer_store_dword v151, off, s[60:63], 0 offset:76 ; 4-byte Folded Spill
	buffer_store_dword v169, off, s[60:63], 0 offset:80 ; 4-byte Folded Spill
	buffer_store_dword v170, off, s[60:63], 0 offset:84 ; 4-byte Folded Spill
	buffer_store_dword v171, off, s[60:63], 0 offset:88 ; 4-byte Folded Spill
	buffer_store_dword v172, off, s[60:63], 0 offset:92 ; 4-byte Folded Spill
	v_fma_f64 v[154:155], v[175:176], s[12:13], v[152:153]
	v_fma_f64 v[152:153], v[175:176], s[12:13], -v[152:153]
	s_mov_b32 s36, s18
	v_mul_f64 v[185:186], v[179:180], s[38:39]
	s_mov_b32 s40, 0x3259b75e
	s_mov_b32 s41, 0x3fb79ee6
	v_fma_f64 v[158:159], v[181:182], s[36:37], v[156:157]
	v_fma_f64 v[156:157], v[181:182], s[18:19], v[156:157]
	v_add_f64 v[203:204], v[130:131], -v[14:15]
	s_mov_b32 s45, 0x3fe0d888
	s_mov_b32 s44, s16
	;; [unrolled: 1-line block ×7, first 2 shown]
	v_add_f64 v[215:216], v[138:139], -v[18:19]
	s_mov_b32 s55, 0x3fefdd0d
	s_mov_b32 s54, s42
	v_add_f64 v[211:212], v[18:19], v[138:139]
	s_mov_b32 s51, 0xbfe58eea
	s_mov_b32 s50, s48
	v_add_f64 v[154:155], v[100:101], v[154:155]
	v_add_f64 v[152:153], v[100:101], v[152:153]
	;; [unrolled: 1-line block ×3, first 2 shown]
	v_add_f64 v[213:214], v[136:137], -v[16:17]
	v_add_f64 v[235:236], v[142:143], -v[98:99]
	v_add_f64 v[219:220], v[96:97], v[140:141]
	v_add_f64 v[158:159], v[102:103], v[158:159]
	v_add_f64 v[156:157], v[102:103], v[156:157]
	v_mul_f64 v[191:192], v[203:204], s[16:17]
	v_add_f64 v[223:224], v[98:99], v[142:143]
	v_add_f64 v[225:226], v[140:141], -v[96:97]
	s_mov_b32 s57, 0xbfeca52d
	s_mov_b32 s56, s30
	v_add_f64 v[247:248], v[126:127], -v[106:107]
	v_add_f64 v[231:232], v[124:125], v[104:105]
	v_add_f64 v[233:234], v[126:127], v[106:107]
	v_add_f64 v[237:238], v[124:125], -v[104:105]
	s_mov_b32 s59, 0xbfeec746
	s_mov_b32 s58, s34
	v_add_f64 v[243:244], v[118:119], v[114:115]
	v_add_f64 v[249:250], v[116:117], -v[112:113]
	v_mul_f64 v[207:208], v[235:236], s[18:19]
	v_mul_f64 v[205:206], v[223:224], s[46:47]
	;; [unrolled: 1-line block ×7, first 2 shown]
	v_fma_f64 v[144:145], v[175:176], s[14:15], -v[144:145]
	v_fma_f64 v[146:147], v[181:182], s[20:21], v[146:147]
	v_fma_f64 v[148:149], v[175:176], s[2:3], -v[148:149]
	v_fma_f64 v[150:151], v[181:182], s[16:17], v[150:151]
	v_fma_f64 v[169:170], v[161:162], s[28:29], -v[169:170]
	v_add_f64 v[144:145], v[100:101], v[144:145]
	v_add_f64 v[146:147], v[102:103], v[146:147]
	;; [unrolled: 1-line block ×5, first 2 shown]
	v_fma_f64 v[169:170], v[165:166], s[34:35], v[171:172]
	v_mul_f64 v[171:172], v[163:164], s[24:25]
	v_add_f64 v[146:147], v[169:170], v[146:147]
	v_mul_f64 v[169:170], v[167:168], s[30:31]
	buffer_store_dword v169, off, s[60:63], 0 offset:96 ; 4-byte Folded Spill
	buffer_store_dword v170, off, s[60:63], 0 offset:100 ; 4-byte Folded Spill
	;; [unrolled: 1-line block ×6, first 2 shown]
	v_fma_f64 v[169:170], v[161:162], s[24:25], -v[169:170]
	v_add_f64 v[148:149], v[169:170], v[148:149]
	v_fma_f64 v[169:170], v[165:166], s[30:31], v[171:172]
	v_add_f64 v[150:151], v[169:170], v[150:151]
	v_mul_f64 v[169:170], v[167:168], s[26:27]
	v_fma_f64 v[171:172], v[161:162], s[22:23], v[169:170]
	v_fma_f64 v[169:170], v[161:162], s[22:23], -v[169:170]
	v_add_f64 v[154:155], v[171:172], v[154:155]
	v_mul_f64 v[171:172], v[163:164], s[22:23]
	v_add_f64 v[152:153], v[169:170], v[152:153]
	v_fma_f64 v[173:174], v[165:166], s[38:39], v[171:172]
	v_fma_f64 v[169:170], v[165:166], s[26:27], v[171:172]
	v_add_f64 v[171:172], v[134:135], v[10:11]
	v_add_f64 v[158:159], v[173:174], v[158:159]
	;; [unrolled: 1-line block ×3, first 2 shown]
	v_mul_f64 v[187:188], v[171:172], s[22:23]
	v_add_f64 v[169:170], v[132:133], v[8:9]
	v_add_f64 v[173:174], v[132:133], -v[8:9]
	buffer_store_dword v187, off, s[60:63], 0 offset:120 ; 4-byte Folded Spill
	buffer_store_dword v188, off, s[60:63], 0 offset:124 ; 4-byte Folded Spill
	v_fma_f64 v[185:186], v[169:170], s[22:23], -v[185:186]
	v_add_f64 v[144:145], v[185:186], v[144:145]
	v_fma_f64 v[185:186], v[173:174], s[38:39], v[187:188]
	v_mul_f64 v[187:188], v[171:172], s[40:41]
	v_add_f64 v[146:147], v[185:186], v[146:147]
	v_mul_f64 v[185:186], v[179:180], s[42:43]
	buffer_store_dword v185, off, s[60:63], 0 offset:128 ; 4-byte Folded Spill
	buffer_store_dword v186, off, s[60:63], 0 offset:132 ; 4-byte Folded Spill
	;; [unrolled: 1-line block ×6, first 2 shown]
	v_fma_f64 v[185:186], v[169:170], s[40:41], -v[185:186]
	v_add_f64 v[148:149], v[185:186], v[148:149]
	v_fma_f64 v[185:186], v[173:174], s[42:43], v[187:188]
	v_add_f64 v[150:151], v[185:186], v[150:151]
	v_mul_f64 v[185:186], v[179:180], s[16:17]
	v_fma_f64 v[187:188], v[169:170], s[2:3], v[185:186]
	v_fma_f64 v[185:186], v[169:170], s[2:3], -v[185:186]
	v_add_f64 v[154:155], v[187:188], v[154:155]
	v_mul_f64 v[187:188], v[171:172], s[2:3]
	v_add_f64 v[152:153], v[185:186], v[152:153]
	v_fma_f64 v[189:190], v[173:174], s[44:45], v[187:188]
	v_fma_f64 v[185:186], v[173:174], s[16:17], v[187:188]
	v_add_f64 v[187:188], v[130:131], v[14:15]
	v_add_f64 v[158:159], v[189:190], v[158:159]
	;; [unrolled: 1-line block ×3, first 2 shown]
	v_mul_f64 v[193:194], v[187:188], s[2:3]
	v_add_f64 v[185:186], v[128:129], v[12:13]
	v_add_f64 v[189:190], v[128:129], -v[12:13]
	buffer_store_dword v193, off, s[60:63], 0 offset:152 ; 4-byte Folded Spill
	buffer_store_dword v194, off, s[60:63], 0 offset:156 ; 4-byte Folded Spill
	v_fma_f64 v[191:192], v[185:186], s[2:3], -v[191:192]
	v_add_f64 v[144:145], v[191:192], v[144:145]
	v_fma_f64 v[191:192], v[189:190], s[16:17], v[193:194]
	v_mul_f64 v[193:194], v[187:188], s[14:15]
	v_add_f64 v[146:147], v[191:192], v[146:147]
	v_mul_f64 v[191:192], v[203:204], s[52:53]
	buffer_store_dword v191, off, s[60:63], 0 offset:160 ; 4-byte Folded Spill
	buffer_store_dword v192, off, s[60:63], 0 offset:164 ; 4-byte Folded Spill
	;; [unrolled: 1-line block ×4, first 2 shown]
	v_fma_f64 v[191:192], v[185:186], s[14:15], -v[191:192]
	v_add_f64 v[148:149], v[191:192], v[148:149]
	v_fma_f64 v[191:192], v[189:190], s[52:53], v[193:194]
	v_add_f64 v[150:151], v[191:192], v[150:151]
	v_mul_f64 v[191:192], v[203:204], s[48:49]
	v_fma_f64 v[193:194], v[185:186], s[46:47], v[191:192]
	v_fma_f64 v[191:192], v[185:186], s[46:47], -v[191:192]
	v_add_f64 v[154:155], v[193:194], v[154:155]
	v_mul_f64 v[193:194], v[187:188], s[46:47]
	v_add_f64 v[152:153], v[191:192], v[152:153]
	v_fma_f64 v[191:192], v[189:190], s[48:49], v[193:194]
	v_fma_f64 v[196:197], v[189:190], s[50:51], v[193:194]
	v_mul_f64 v[193:194], v[211:212], s[40:41]
	v_add_f64 v[156:157], v[191:192], v[156:157]
	v_mul_f64 v[191:192], v[215:216], s[54:55]
	v_add_f64 v[158:159], v[196:197], v[158:159]
	buffer_store_dword v191, off, s[60:63], 0 offset:176 ; 4-byte Folded Spill
	buffer_store_dword v192, off, s[60:63], 0 offset:180 ; 4-byte Folded Spill
	;; [unrolled: 1-line block ×4, first 2 shown]
	v_fma_f64 v[191:192], v[209:210], s[40:41], -v[191:192]
	v_add_f64 v[144:145], v[191:192], v[144:145]
	v_fma_f64 v[191:192], v[213:214], s[54:55], v[193:194]
	v_mul_f64 v[193:194], v[211:212], s[22:23]
	v_add_f64 v[146:147], v[191:192], v[146:147]
	v_mul_f64 v[191:192], v[215:216], s[38:39]
	buffer_store_dword v191, off, s[60:63], 0 offset:192 ; 4-byte Folded Spill
	buffer_store_dword v192, off, s[60:63], 0 offset:196 ; 4-byte Folded Spill
	;; [unrolled: 1-line block ×4, first 2 shown]
	v_fma_f64 v[191:192], v[209:210], s[22:23], -v[191:192]
	v_add_f64 v[148:149], v[191:192], v[148:149]
	v_fma_f64 v[191:192], v[213:214], s[38:39], v[193:194]
	v_add_f64 v[150:151], v[191:192], v[150:151]
	v_mul_f64 v[191:192], v[215:216], s[20:21]
	v_fma_f64 v[193:194], v[209:210], s[14:15], v[191:192]
	v_fma_f64 v[191:192], v[209:210], s[14:15], -v[191:192]
	v_add_f64 v[154:155], v[193:194], v[154:155]
	v_mul_f64 v[193:194], v[211:212], s[14:15]
	v_add_f64 v[152:153], v[191:192], v[152:153]
	v_fma_f64 v[191:192], v[213:214], s[20:21], v[193:194]
	v_fma_f64 v[201:202], v[213:214], s[52:53], v[193:194]
	v_add_f64 v[156:157], v[191:192], v[156:157]
	v_mul_f64 v[191:192], v[235:236], s[50:51]
	buffer_store_dword v191, off, s[60:63], 0 offset:208 ; 4-byte Folded Spill
	buffer_store_dword v192, off, s[60:63], 0 offset:212 ; 4-byte Folded Spill
	v_add_f64 v[158:159], v[201:202], v[158:159]
	v_mul_f64 v[200:201], v[243:244], s[40:41]
	s_waitcnt_vscnt null, 0x0
	s_barrier
	buffer_gl0_inv
	v_fma_f64 v[191:192], v[219:220], s[46:47], -v[191:192]
	v_add_f64 v[144:145], v[191:192], v[144:145]
	v_fma_f64 v[191:192], v[225:226], s[50:51], v[205:206]
	v_add_f64 v[146:147], v[191:192], v[146:147]
	v_fma_f64 v[191:192], v[219:220], s[12:13], -v[207:208]
	v_add_f64 v[148:149], v[191:192], v[148:149]
	v_fma_f64 v[191:192], v[225:226], s[18:19], v[217:218]
	v_add_f64 v[150:151], v[191:192], v[150:151]
	v_mul_f64 v[191:192], v[235:236], s[30:31]
	v_fma_f64 v[193:194], v[219:220], s[24:25], v[191:192]
	v_fma_f64 v[191:192], v[219:220], s[24:25], -v[191:192]
	v_add_f64 v[154:155], v[193:194], v[154:155]
	v_mul_f64 v[193:194], v[223:224], s[24:25]
	v_add_f64 v[152:153], v[191:192], v[152:153]
	v_fma_f64 v[221:222], v[225:226], s[56:57], v[193:194]
	v_fma_f64 v[191:192], v[225:226], s[30:31], v[193:194]
	v_add_f64 v[158:159], v[221:222], v[158:159]
	v_mul_f64 v[221:222], v[247:248], s[18:19]
	v_add_f64 v[156:157], v[191:192], v[156:157]
	v_fma_f64 v[191:192], v[231:232], s[12:13], -v[221:222]
	v_add_f64 v[144:145], v[191:192], v[144:145]
	v_fma_f64 v[191:192], v[237:238], s[18:19], v[227:228]
	v_add_f64 v[146:147], v[191:192], v[146:147]
	v_fma_f64 v[191:192], v[231:232], s[46:47], -v[229:230]
	v_add_f64 v[148:149], v[191:192], v[148:149]
	v_fma_f64 v[191:192], v[237:238], s[48:49], v[241:242]
	v_add_f64 v[150:151], v[191:192], v[150:151]
	v_mul_f64 v[191:192], v[247:248], s[58:59]
	v_fma_f64 v[193:194], v[231:232], s[28:29], v[191:192]
	v_fma_f64 v[191:192], v[231:232], s[28:29], -v[191:192]
	v_add_f64 v[154:155], v[193:194], v[154:155]
	v_mul_f64 v[193:194], v[233:234], s[28:29]
	v_add_f64 v[196:197], v[191:192], v[152:153]
	v_add_f64 v[191:192], v[118:119], -v[114:115]
	v_fma_f64 v[239:240], v[237:238], s[34:35], v[193:194]
	v_fma_f64 v[152:153], v[237:238], s[58:59], v[193:194]
	v_mul_f64 v[245:246], v[191:192], s[30:31]
	v_mul_f64 v[253:254], v[191:192], s[58:59]
	;; [unrolled: 1-line block ×3, first 2 shown]
	v_add_f64 v[158:159], v[239:240], v[158:159]
	v_add_f64 v[239:240], v[116:117], v[112:113]
	;; [unrolled: 1-line block ×3, first 2 shown]
	v_mul_f64 v[156:157], v[191:192], s[54:55]
	v_fma_f64 v[152:153], v[239:240], s[24:25], -v[245:246]
	v_add_f64 v[144:145], v[152:153], v[144:145]
	v_fma_f64 v[152:153], v[249:250], s[30:31], v[251:252]
	v_add_f64 v[146:147], v[152:153], v[146:147]
	v_fma_f64 v[152:153], v[239:240], s[28:29], -v[253:254]
	v_add_f64 v[148:149], v[152:153], v[148:149]
	v_fma_f64 v[152:153], v[249:250], s[58:59], v[193:194]
	v_add_f64 v[150:151], v[152:153], v[150:151]
	v_fma_f64 v[152:153], v[239:240], s[40:41], v[156:157]
	v_fma_f64 v[156:157], v[239:240], s[40:41], -v[156:157]
	v_add_f64 v[152:153], v[152:153], v[154:155]
	v_fma_f64 v[154:155], v[249:250], s[42:43], v[200:201]
	v_add_f64 v[156:157], v[156:157], v[196:197]
	v_add_f64 v[154:155], v[154:155], v[158:159]
	v_fma_f64 v[158:159], v[249:250], s[54:55], v[200:201]
	v_add_f64 v[158:159], v[158:159], v[198:199]
	s_and_saveexec_b32 s1, vcc_lo
	s_cbranch_execz .LBB0_17
; %bb.16:
	v_add_f64 v[110:111], v[102:103], v[110:111]
	v_add_f64 v[108:109], v[100:101], v[108:109]
	;; [unrolled: 1-line block ×6, first 2 shown]
	v_mul_f64 v[132:133], v[183:184], s[56:57]
	v_mul_f64 v[134:135], v[183:184], s[50:51]
	v_add_f64 v[110:111], v[130:131], v[110:111]
	v_add_f64 v[108:109], v[128:129], v[108:109]
	v_mul_f64 v[128:129], v[183:184], s[58:59]
	v_mul_f64 v[130:131], v[183:184], s[42:43]
	v_add_f64 v[110:111], v[138:139], v[110:111]
	v_add_f64 v[108:109], v[136:137], v[108:109]
	v_mul_f64 v[136:137], v[183:184], s[38:39]
	v_fma_f64 v[138:139], v[175:176], s[28:29], -v[128:129]
	v_fma_f64 v[128:129], v[175:176], s[28:29], v[128:129]
	v_add_f64 v[110:111], v[142:143], v[110:111]
	v_add_f64 v[108:109], v[140:141], v[108:109]
	v_fma_f64 v[140:141], v[175:176], s[40:41], -v[130:131]
	v_fma_f64 v[130:131], v[175:176], s[40:41], v[130:131]
	v_fma_f64 v[142:143], v[175:176], s[24:25], -v[132:133]
	v_fma_f64 v[132:133], v[175:176], s[24:25], v[132:133]
	v_add_f64 v[138:139], v[100:101], v[138:139]
	v_add_f64 v[128:129], v[100:101], v[128:129]
	;; [unrolled: 1-line block ×10, first 2 shown]
	v_mul_f64 v[116:117], v[181:182], s[38:39]
	v_add_f64 v[110:111], v[114:115], v[110:111]
	v_add_f64 v[108:109], v[112:113], v[108:109]
	v_mul_f64 v[112:113], v[181:182], s[56:57]
	v_mul_f64 v[114:115], v[181:182], s[50:51]
	v_fma_f64 v[126:127], v[177:178], s[22:23], -v[116:117]
	v_fma_f64 v[116:117], v[177:178], s[22:23], v[116:117]
	v_add_f64 v[106:107], v[106:107], v[110:111]
	v_add_f64 v[104:105], v[104:105], v[108:109]
	v_mul_f64 v[110:111], v[181:182], s[42:43]
	v_fma_f64 v[122:123], v[177:178], s[24:25], v[112:113]
	v_fma_f64 v[112:113], v[177:178], s[24:25], -v[112:113]
	v_fma_f64 v[124:125], v[177:178], s[46:47], -v[114:115]
	v_fma_f64 v[114:115], v[177:178], s[46:47], v[114:115]
	v_add_f64 v[126:127], v[102:103], v[126:127]
	v_add_f64 v[98:99], v[98:99], v[106:107]
	;; [unrolled: 1-line block ×3, first 2 shown]
	v_fma_f64 v[120:121], v[177:178], s[40:41], v[110:111]
	v_fma_f64 v[110:111], v[177:178], s[40:41], -v[110:111]
	v_add_f64 v[122:123], v[102:103], v[122:123]
	v_add_f64 v[112:113], v[102:103], v[112:113]
	;; [unrolled: 1-line block ×5, first 2 shown]
	s_clause 0x7
	buffer_load_dword v98, off, s[60:63], 0 offset:72
	buffer_load_dword v99, off, s[60:63], 0 offset:76
	;; [unrolled: 1-line block ×8, first 2 shown]
	v_add_f64 v[16:17], v[16:17], v[96:97]
	v_mul_f64 v[96:97], v[181:182], s[16:17]
	v_add_f64 v[120:121], v[102:103], v[120:121]
	v_add_f64 v[110:111], v[102:103], v[110:111]
	;; [unrolled: 1-line block ×3, first 2 shown]
	v_mul_f64 v[14:15], v[165:166], s[30:31]
	v_add_f64 v[16:17], v[12:13], v[16:17]
	v_mul_f64 v[12:13], v[225:226], s[18:19]
	v_add_f64 v[18:19], v[10:11], v[18:19]
	v_add_f64 v[16:17], v[8:9], v[16:17]
	v_add_f64 v[12:13], v[217:218], -v[12:13]
	v_mul_f64 v[8:9], v[165:166], s[34:35]
	v_add_f64 v[6:7], v[6:7], v[18:19]
	v_add_f64 v[16:17], v[4:5], v[16:17]
	v_mul_f64 v[4:5], v[165:166], s[44:45]
	v_fma_f64 v[18:19], v[163:164], s[2:3], -v[4:5]
	v_fma_f64 v[4:5], v[163:164], s[2:3], v[4:5]
	s_waitcnt vmcnt(6)
	v_add_f64 v[96:97], v[98:99], -v[96:97]
	v_mul_f64 v[98:99], v[175:176], s[2:3]
	v_add_f64 v[96:97], v[102:103], v[96:97]
	s_waitcnt vmcnt(4)
	v_add_f64 v[98:99], v[98:99], v[104:105]
	v_mul_f64 v[104:105], v[181:182], s[20:21]
	v_add_f64 v[98:99], v[100:101], v[98:99]
	s_waitcnt vmcnt(2)
	v_add_f64 v[104:105], v[106:107], -v[104:105]
	v_mul_f64 v[106:107], v[175:176], s[14:15]
	v_add_f64 v[104:105], v[102:103], v[104:105]
	s_waitcnt vmcnt(0)
	v_add_f64 v[106:107], v[106:107], v[108:109]
	v_mul_f64 v[108:109], v[181:182], s[58:59]
	v_fma_f64 v[181:182], v[175:176], s[22:23], v[136:137]
	v_fma_f64 v[136:137], v[175:176], s[22:23], -v[136:137]
	v_add_f64 v[106:107], v[100:101], v[106:107]
	v_fma_f64 v[118:119], v[177:178], s[28:29], -v[108:109]
	v_fma_f64 v[108:109], v[177:178], s[28:29], v[108:109]
	v_fma_f64 v[177:178], v[175:176], s[46:47], v[134:135]
	v_fma_f64 v[134:135], v[175:176], s[46:47], -v[134:135]
	v_add_f64 v[175:176], v[100:101], v[181:182]
	v_add_f64 v[118:119], v[102:103], v[118:119]
	;; [unrolled: 1-line block ×4, first 2 shown]
	s_clause 0x1
	buffer_load_dword v116, off, s[60:63], 0 offset:104
	buffer_load_dword v117, off, s[60:63], 0 offset:108
	v_add_f64 v[177:178], v[100:101], v[177:178]
	v_add_f64 v[134:135], v[100:101], v[134:135]
	;; [unrolled: 1-line block ×3, first 2 shown]
	s_clause 0xf
	buffer_load_dword v136, off, s[60:63], 0 offset:96
	buffer_load_dword v137, off, s[60:63], 0 offset:100
	;; [unrolled: 1-line block ×16, first 2 shown]
	v_add_f64 v[18:19], v[18:19], v[118:119]
	v_add_f64 v[4:5], v[4:5], v[108:109]
	v_mul_f64 v[108:109], v[167:168], s[18:19]
	s_waitcnt vmcnt(16)
	v_add_f64 v[14:15], v[116:117], -v[14:15]
	v_mul_f64 v[116:117], v[161:162], s[24:25]
	s_waitcnt vmcnt(0)
	v_add_f64 v[8:9], v[10:11], -v[8:9]
	v_mul_f64 v[10:11], v[161:162], s[28:29]
	v_add_f64 v[14:15], v[14:15], v[96:97]
	v_add_f64 v[116:117], v[116:117], v[136:137]
	v_mul_f64 v[136:137], v[213:214], s[38:39]
	v_add_f64 v[8:9], v[8:9], v[104:105]
	v_mul_f64 v[104:105], v[219:220], s[46:47]
	v_add_f64 v[96:97], v[116:117], v[98:99]
	v_add_f64 v[136:137], v[181:182], -v[136:137]
	v_mul_f64 v[181:182], v[173:174], s[42:43]
	v_mul_f64 v[98:99], v[219:220], s[12:13]
	;; [unrolled: 1-line block ×3, first 2 shown]
	v_add_f64 v[181:182], v[183:184], -v[181:182]
	v_mul_f64 v[183:184], v[169:170], s[40:41]
	v_add_f64 v[98:99], v[98:99], v[207:208]
	v_add_f64 v[116:117], v[241:242], -v[116:117]
	v_add_f64 v[14:15], v[181:182], v[14:15]
	v_add_f64 v[183:184], v[183:184], v[196:197]
	v_mul_f64 v[196:197], v[189:190], s[52:53]
	v_mul_f64 v[181:182], v[231:232], s[46:47]
	v_add_f64 v[96:97], v[183:184], v[96:97]
	v_add_f64 v[196:197], v[198:199], -v[196:197]
	v_mul_f64 v[198:199], v[185:186], s[14:15]
	v_add_f64 v[181:182], v[181:182], v[229:230]
	v_add_f64 v[14:15], v[196:197], v[14:15]
	;; [unrolled: 1-line block ×3, first 2 shown]
	v_mul_f64 v[200:201], v[209:210], s[22:23]
	v_add_f64 v[14:15], v[136:137], v[14:15]
	v_add_f64 v[96:97], v[198:199], v[96:97]
	;; [unrolled: 1-line block ×3, first 2 shown]
	v_mul_f64 v[136:137], v[249:250], s[58:59]
	v_add_f64 v[12:13], v[12:13], v[14:15]
	v_add_f64 v[96:97], v[200:201], v[96:97]
	v_add_f64 v[136:137], v[193:194], -v[136:137]
	v_add_f64 v[12:13], v[116:117], v[12:13]
	v_add_f64 v[14:15], v[98:99], v[96:97]
	v_mul_f64 v[96:97], v[239:240], s[28:29]
	v_add_f64 v[98:99], v[181:182], v[14:15]
	v_add_f64 v[96:97], v[96:97], v[253:254]
	;; [unrolled: 1-line block ×4, first 2 shown]
	s_clause 0xd
	buffer_load_dword v96, off, s[60:63], 0 offset:80
	buffer_load_dword v97, off, s[60:63], 0 offset:84
	;; [unrolled: 1-line block ×14, first 2 shown]
	s_waitcnt vmcnt(12)
	v_add_f64 v[10:11], v[10:11], v[96:97]
	v_mul_f64 v[96:97], v[173:174], s[38:39]
	v_add_f64 v[10:11], v[10:11], v[106:107]
	s_clause 0x1
	buffer_load_dword v106, off, s[60:63], 0 offset:208
	buffer_load_dword v107, off, s[60:63], 0 offset:212
	s_waitcnt vmcnt(12)
	v_add_f64 v[96:97], v[98:99], -v[96:97]
	v_mul_f64 v[98:99], v[169:170], s[22:23]
	v_add_f64 v[8:9], v[96:97], v[8:9]
	s_waitcnt vmcnt(10)
	v_add_f64 v[98:99], v[98:99], v[116:117]
	v_mul_f64 v[116:117], v[189:190], s[16:17]
	v_mul_f64 v[96:97], v[237:238], s[18:19]
	v_add_f64 v[10:11], v[98:99], v[10:11]
	s_waitcnt vmcnt(8)
	v_add_f64 v[116:117], v[136:137], -v[116:117]
	v_mul_f64 v[136:137], v[185:186], s[2:3]
	v_mul_f64 v[98:99], v[231:232], s[12:13]
	v_add_f64 v[96:97], v[227:228], -v[96:97]
	v_add_f64 v[8:9], v[116:117], v[8:9]
	s_waitcnt vmcnt(6)
	v_add_f64 v[136:137], v[136:137], v[181:182]
	v_mul_f64 v[181:182], v[213:214], s[54:55]
	v_add_f64 v[98:99], v[98:99], v[221:222]
	v_fma_f64 v[116:117], v[161:162], s[12:13], -v[108:109]
	v_fma_f64 v[108:109], v[161:162], s[12:13], v[108:109]
	v_add_f64 v[10:11], v[136:137], v[10:11]
	s_waitcnt vmcnt(4)
	v_add_f64 v[181:182], v[183:184], -v[181:182]
	v_mul_f64 v[183:184], v[209:210], s[40:41]
	v_add_f64 v[116:117], v[116:117], v[140:141]
	v_add_f64 v[108:109], v[108:109], v[130:131]
	v_add_f64 v[8:9], v[181:182], v[8:9]
	s_waitcnt vmcnt(2)
	v_add_f64 v[183:184], v[183:184], v[193:194]
	v_mul_f64 v[193:194], v[225:226], s[50:51]
	v_add_f64 v[10:11], v[183:184], v[10:11]
	v_add_f64 v[193:194], v[205:206], -v[193:194]
	v_mul_f64 v[183:184], v[247:248], s[42:43]
	v_add_f64 v[8:9], v[193:194], v[8:9]
	v_add_f64 v[8:9], v[96:97], v[8:9]
	s_waitcnt vmcnt(0)
	v_add_f64 v[104:105], v[104:105], v[106:107]
	v_mul_f64 v[106:107], v[249:250], s[30:31]
	v_add_f64 v[10:11], v[104:105], v[10:11]
	v_mul_f64 v[104:105], v[239:240], s[24:25]
	v_add_f64 v[106:107], v[251:252], -v[106:107]
	v_add_f64 v[96:97], v[98:99], v[10:11]
	v_add_f64 v[104:105], v[104:105], v[245:246]
	;; [unrolled: 1-line block ×4, first 2 shown]
	v_mul_f64 v[104:105], v[165:166], s[18:19]
	v_mul_f64 v[96:97], v[167:168], s[44:45]
	v_fma_f64 v[106:107], v[163:164], s[12:13], v[104:105]
	v_fma_f64 v[104:105], v[163:164], s[12:13], -v[104:105]
	v_fma_f64 v[98:99], v[161:162], s[2:3], -v[96:97]
	v_fma_f64 v[96:97], v[161:162], s[2:3], v[96:97]
	v_add_f64 v[106:107], v[106:107], v[120:121]
	v_add_f64 v[104:105], v[104:105], v[110:111]
	v_mul_f64 v[110:111], v[165:166], s[20:21]
	v_mul_f64 v[120:121], v[167:168], s[20:21]
	v_add_f64 v[96:97], v[96:97], v[128:129]
	v_add_f64 v[98:99], v[98:99], v[138:139]
	v_fma_f64 v[118:119], v[163:164], s[14:15], v[110:111]
	v_fma_f64 v[110:111], v[163:164], s[14:15], -v[110:111]
	v_add_f64 v[118:119], v[118:119], v[122:123]
	v_fma_f64 v[122:123], v[161:162], s[14:15], -v[120:121]
	v_add_f64 v[110:111], v[110:111], v[112:113]
	v_fma_f64 v[112:113], v[161:162], s[14:15], v[120:121]
	v_mul_f64 v[120:121], v[173:174], s[48:49]
	v_add_f64 v[122:123], v[122:123], v[142:143]
	v_add_f64 v[112:113], v[112:113], v[132:133]
	v_fma_f64 v[128:129], v[171:172], s[46:47], -v[120:121]
	v_fma_f64 v[120:121], v[171:172], s[46:47], v[120:121]
	v_add_f64 v[18:19], v[128:129], v[18:19]
	v_add_f64 v[4:5], v[120:121], v[4:5]
	v_mul_f64 v[120:121], v[179:180], s[48:49]
	v_fma_f64 v[128:129], v[169:170], s[46:47], -v[120:121]
	v_fma_f64 v[120:121], v[169:170], s[46:47], v[120:121]
	v_add_f64 v[98:99], v[128:129], v[98:99]
	v_add_f64 v[96:97], v[120:121], v[96:97]
	v_mul_f64 v[120:121], v[173:174], s[34:35]
	v_fma_f64 v[128:129], v[171:172], s[28:29], v[120:121]
	v_fma_f64 v[120:121], v[171:172], s[28:29], -v[120:121]
	v_add_f64 v[106:107], v[128:129], v[106:107]
	v_mul_f64 v[128:129], v[179:180], s[34:35]
	v_add_f64 v[104:105], v[120:121], v[104:105]
	v_fma_f64 v[120:121], v[169:170], s[28:29], v[128:129]
	v_fma_f64 v[130:131], v[169:170], s[28:29], -v[128:129]
	v_add_f64 v[108:109], v[120:121], v[108:109]
	v_mul_f64 v[120:121], v[173:174], s[36:37]
	v_add_f64 v[116:117], v[130:131], v[116:117]
	;; [unrolled: 5-line block ×3, first 2 shown]
	v_mul_f64 v[120:121], v[189:190], s[56:57]
	v_fma_f64 v[130:131], v[169:170], s[12:13], -v[128:129]
	v_add_f64 v[122:123], v[130:131], v[122:123]
	v_fma_f64 v[130:131], v[187:188], s[24:25], -v[120:121]
	v_fma_f64 v[120:121], v[187:188], s[24:25], v[120:121]
	v_add_f64 v[18:19], v[130:131], v[18:19]
	v_add_f64 v[4:5], v[120:121], v[4:5]
	v_mul_f64 v[120:121], v[203:204], s[56:57]
	v_fma_f64 v[130:131], v[185:186], s[24:25], -v[120:121]
	v_fma_f64 v[120:121], v[185:186], s[24:25], v[120:121]
	v_add_f64 v[98:99], v[130:131], v[98:99]
	v_add_f64 v[96:97], v[120:121], v[96:97]
	v_mul_f64 v[120:121], v[189:190], s[26:27]
	v_fma_f64 v[130:131], v[187:188], s[22:23], v[120:121]
	v_fma_f64 v[120:121], v[187:188], s[22:23], -v[120:121]
	v_add_f64 v[106:107], v[130:131], v[106:107]
	v_mul_f64 v[130:131], v[203:204], s[26:27]
	v_add_f64 v[104:105], v[120:121], v[104:105]
	v_fma_f64 v[120:121], v[185:186], s[22:23], v[130:131]
	v_fma_f64 v[132:133], v[185:186], s[22:23], -v[130:131]
	v_add_f64 v[108:109], v[120:121], v[108:109]
	v_mul_f64 v[120:121], v[189:190], s[34:35]
	v_add_f64 v[116:117], v[132:133], v[116:117]
	v_fma_f64 v[130:131], v[187:188], s[28:29], v[120:121]
	v_add_f64 v[118:119], v[130:131], v[118:119]
	v_mul_f64 v[130:131], v[203:204], s[34:35]
	v_fma_f64 v[132:133], v[185:186], s[28:29], -v[130:131]
	v_add_f64 v[122:123], v[132:133], v[122:123]
	v_mul_f64 v[132:133], v[213:214], s[18:19]
	v_fma_f64 v[136:137], v[211:212], s[12:13], -v[132:133]
	v_fma_f64 v[132:133], v[211:212], s[12:13], v[132:133]
	v_add_f64 v[18:19], v[136:137], v[18:19]
	v_add_f64 v[4:5], v[132:133], v[4:5]
	v_mul_f64 v[132:133], v[215:216], s[18:19]
	v_fma_f64 v[136:137], v[209:210], s[12:13], -v[132:133]
	v_fma_f64 v[132:133], v[209:210], s[12:13], v[132:133]
	v_add_f64 v[98:99], v[136:137], v[98:99]
	v_add_f64 v[96:97], v[132:133], v[96:97]
	v_mul_f64 v[132:133], v[213:214], s[56:57]
	v_fma_f64 v[136:137], v[211:212], s[24:25], v[132:133]
	v_fma_f64 v[132:133], v[211:212], s[24:25], -v[132:133]
	v_add_f64 v[106:107], v[136:137], v[106:107]
	v_mul_f64 v[136:137], v[215:216], s[56:57]
	v_add_f64 v[104:105], v[132:133], v[104:105]
	v_mul_f64 v[132:133], v[225:226], s[54:55]
	v_fma_f64 v[138:139], v[209:210], s[24:25], -v[136:137]
	v_add_f64 v[116:117], v[138:139], v[116:117]
	v_fma_f64 v[138:139], v[223:224], s[40:41], -v[132:133]
	v_fma_f64 v[132:133], v[223:224], s[40:41], v[132:133]
	v_add_f64 v[18:19], v[138:139], v[18:19]
	v_add_f64 v[4:5], v[132:133], v[4:5]
	v_mul_f64 v[132:133], v[235:236], s[54:55]
	v_fma_f64 v[138:139], v[219:220], s[40:41], -v[132:133]
	v_fma_f64 v[132:133], v[219:220], s[40:41], v[132:133]
	v_add_f64 v[98:99], v[138:139], v[98:99]
	v_add_f64 v[96:97], v[132:133], v[96:97]
	v_mul_f64 v[132:133], v[225:226], s[16:17]
	v_fma_f64 v[138:139], v[223:224], s[2:3], v[132:133]
	v_fma_f64 v[132:133], v[223:224], s[2:3], -v[132:133]
	v_add_f64 v[106:107], v[138:139], v[106:107]
	v_mul_f64 v[138:139], v[235:236], s[16:17]
	v_add_f64 v[104:105], v[132:133], v[104:105]
	v_mul_f64 v[132:133], v[237:238], s[38:39]
	v_fma_f64 v[140:141], v[219:220], s[2:3], -v[138:139]
	v_add_f64 v[116:117], v[140:141], v[116:117]
	v_fma_f64 v[140:141], v[233:234], s[22:23], -v[132:133]
	v_fma_f64 v[132:133], v[233:234], s[22:23], v[132:133]
	v_add_f64 v[18:19], v[140:141], v[18:19]
	v_add_f64 v[132:133], v[132:133], v[4:5]
	v_mul_f64 v[4:5], v[247:248], s[38:39]
	v_fma_f64 v[140:141], v[231:232], s[22:23], -v[4:5]
	v_fma_f64 v[4:5], v[231:232], s[22:23], v[4:5]
	v_add_f64 v[140:141], v[140:141], v[98:99]
	v_add_f64 v[142:143], v[4:5], v[96:97]
	v_mul_f64 v[4:5], v[237:238], s[52:53]
	v_fma_f64 v[98:99], v[209:210], s[24:25], v[136:137]
	v_fma_f64 v[96:97], v[233:234], s[14:15], v[4:5]
	v_fma_f64 v[4:5], v[233:234], s[14:15], -v[4:5]
	v_add_f64 v[98:99], v[98:99], v[108:109]
	v_add_f64 v[181:182], v[96:97], v[106:107]
	v_fma_f64 v[96:97], v[187:188], s[28:29], -v[120:121]
	v_mul_f64 v[106:107], v[213:214], s[48:49]
	v_add_f64 v[104:105], v[4:5], v[104:105]
	v_add_f64 v[96:97], v[96:97], v[110:111]
	v_fma_f64 v[4:5], v[211:212], s[46:47], -v[106:107]
	v_fma_f64 v[108:109], v[211:212], s[46:47], v[106:107]
	v_mul_f64 v[110:111], v[247:248], s[52:53]
	v_add_f64 v[4:5], v[4:5], v[96:97]
	v_fma_f64 v[96:97], v[219:220], s[2:3], v[138:139]
	v_add_f64 v[108:109], v[108:109], v[118:119]
	v_fma_f64 v[118:119], v[231:232], s[14:15], -v[110:111]
	v_fma_f64 v[110:111], v[231:232], s[14:15], v[110:111]
	v_add_f64 v[96:97], v[96:97], v[98:99]
	v_mul_f64 v[98:99], v[225:226], s[38:39]
	v_add_f64 v[116:117], v[118:119], v[116:117]
	v_fma_f64 v[118:119], v[169:170], s[12:13], v[128:129]
	v_mul_f64 v[128:129], v[167:168], s[42:43]
	v_fma_f64 v[106:107], v[223:224], s[22:23], v[98:99]
	v_fma_f64 v[98:99], v[223:224], s[22:23], -v[98:99]
	v_add_f64 v[112:113], v[118:119], v[112:113]
	v_mul_f64 v[118:119], v[215:216], s[48:49]
	v_fma_f64 v[136:137], v[161:162], s[40:41], v[128:129]
	v_fma_f64 v[128:129], v[161:162], s[40:41], -v[128:129]
	v_add_f64 v[106:107], v[106:107], v[108:109]
	v_fma_f64 v[108:109], v[185:186], s[28:29], v[130:131]
	v_add_f64 v[4:5], v[98:99], v[4:5]
	v_fma_f64 v[120:121], v[209:210], s[46:47], -v[118:119]
	v_fma_f64 v[98:99], v[209:210], s[46:47], v[118:119]
	v_mul_f64 v[130:131], v[167:168], s[50:51]
	v_add_f64 v[136:137], v[136:137], v[177:178]
	v_mul_f64 v[167:168], v[215:216], s[44:45]
	v_mul_f64 v[177:178], v[247:248], s[30:31]
	v_add_f64 v[108:109], v[108:109], v[112:113]
	v_mul_f64 v[112:113], v[235:236], s[38:39]
	v_add_f64 v[120:121], v[120:121], v[122:123]
	v_fma_f64 v[138:139], v[161:162], s[46:47], v[130:131]
	v_fma_f64 v[130:131], v[161:162], s[46:47], -v[130:131]
	v_mul_f64 v[161:162], v[179:180], s[56:57]
	v_add_f64 v[98:99], v[98:99], v[108:109]
	v_fma_f64 v[122:123], v[219:220], s[22:23], -v[112:113]
	v_mul_f64 v[108:109], v[165:166], s[42:43]
	v_fma_f64 v[112:113], v[219:220], s[22:23], v[112:113]
	v_add_f64 v[100:101], v[130:131], v[100:101]
	v_add_f64 v[120:121], v[122:123], v[120:121]
	v_fma_f64 v[118:119], v[163:164], s[40:41], -v[108:109]
	v_mul_f64 v[122:123], v[165:166], s[50:51]
	v_fma_f64 v[108:109], v[163:164], s[40:41], v[108:109]
	v_fma_f64 v[165:166], v[169:170], s[24:25], v[161:162]
	v_fma_f64 v[161:162], v[169:170], s[24:25], -v[161:162]
	v_add_f64 v[98:99], v[112:113], v[98:99]
	v_add_f64 v[118:119], v[118:119], v[124:125]
	v_fma_f64 v[124:125], v[163:164], s[46:47], -v[122:123]
	v_fma_f64 v[122:123], v[163:164], s[46:47], v[122:123]
	v_add_f64 v[108:109], v[108:109], v[114:115]
	v_add_f64 v[114:115], v[128:129], v[134:135]
	v_mul_f64 v[128:129], v[173:174], s[20:21]
	v_add_f64 v[100:101], v[161:162], v[100:101]
	v_mul_f64 v[161:162], v[213:214], s[58:59]
	v_add_f64 v[124:125], v[124:125], v[126:127]
	v_add_f64 v[102:103], v[122:123], v[102:103]
	v_mul_f64 v[122:123], v[179:180], s[20:21]
	v_add_f64 v[126:127], v[138:139], v[175:176]
	v_fma_f64 v[134:135], v[171:172], s[14:15], -v[128:129]
	v_fma_f64 v[128:129], v[171:172], s[14:15], v[128:129]
	v_mul_f64 v[175:176], v[235:236], s[34:35]
	v_fma_f64 v[163:164], v[169:170], s[14:15], v[122:123]
	v_fma_f64 v[122:123], v[169:170], s[14:15], -v[122:123]
	v_add_f64 v[118:119], v[134:135], v[118:119]
	v_mul_f64 v[134:135], v[173:174], s[56:57]
	v_add_f64 v[108:109], v[128:129], v[108:109]
	v_add_f64 v[126:127], v[165:166], v[126:127]
	v_mul_f64 v[169:170], v[225:226], s[20:21]
	v_mul_f64 v[173:174], v[235:236], s[20:21]
	v_add_f64 v[130:131], v[163:164], v[136:137]
	v_add_f64 v[114:115], v[122:123], v[114:115]
	v_mul_f64 v[122:123], v[189:190], s[18:19]
	v_fma_f64 v[138:139], v[171:172], s[24:25], -v[134:135]
	v_fma_f64 v[134:135], v[171:172], s[24:25], v[134:135]
	v_fma_f64 v[128:129], v[187:188], s[12:13], -v[122:123]
	v_add_f64 v[124:125], v[138:139], v[124:125]
	v_add_f64 v[102:103], v[134:135], v[102:103]
	v_mul_f64 v[134:135], v[203:204], s[18:19]
	v_mul_f64 v[138:139], v[203:204], s[42:43]
	v_fma_f64 v[122:123], v[187:188], s[12:13], v[122:123]
	v_add_f64 v[118:119], v[128:129], v[118:119]
	v_mul_f64 v[128:129], v[189:190], s[42:43]
	v_mul_f64 v[189:190], v[191:192], s[26:27]
	v_fma_f64 v[163:164], v[185:186], s[12:13], v[134:135]
	v_fma_f64 v[134:135], v[185:186], s[12:13], -v[134:135]
	v_fma_f64 v[165:166], v[185:186], s[40:41], v[138:139]
	v_add_f64 v[108:109], v[122:123], v[108:109]
	v_mul_f64 v[122:123], v[225:226], s[34:35]
	v_fma_f64 v[138:139], v[185:186], s[40:41], -v[138:139]
	v_mul_f64 v[185:186], v[191:192], s[48:49]
	v_fma_f64 v[136:137], v[187:188], s[40:41], -v[128:129]
	v_fma_f64 v[128:129], v[187:188], s[40:41], v[128:129]
	v_add_f64 v[130:131], v[163:164], v[130:131]
	v_add_f64 v[114:115], v[134:135], v[114:115]
	;; [unrolled: 1-line block ×3, first 2 shown]
	v_fma_f64 v[134:135], v[211:212], s[28:29], -v[161:162]
	v_fma_f64 v[171:172], v[223:224], s[28:29], -v[122:123]
	v_fma_f64 v[122:123], v[223:224], s[28:29], v[122:123]
	v_mul_f64 v[163:164], v[215:216], s[58:59]
	v_fma_f64 v[161:162], v[211:212], s[28:29], v[161:162]
	v_add_f64 v[100:101], v[138:139], v[100:101]
	v_mul_f64 v[138:139], v[237:238], s[42:43]
	v_mul_f64 v[187:188], v[191:192], s[18:19]
	v_fma_f64 v[193:194], v[239:240], s[22:23], v[189:190]
	v_fma_f64 v[198:199], v[239:240], s[46:47], v[185:186]
	v_fma_f64 v[185:186], v[239:240], s[46:47], -v[185:186]
	v_fma_f64 v[189:190], v[239:240], s[22:23], -v[189:190]
	v_add_f64 v[124:125], v[136:137], v[124:125]
	v_mul_f64 v[136:137], v[213:214], s[44:45]
	v_add_f64 v[102:103], v[128:129], v[102:103]
	v_fma_f64 v[128:129], v[209:210], s[28:29], v[163:164]
	v_fma_f64 v[163:164], v[209:210], s[28:29], -v[163:164]
	v_add_f64 v[116:117], v[185:186], v[116:117]
	v_add_f64 v[124:125], v[134:135], v[124:125]
	v_fma_f64 v[165:166], v[211:212], s[2:3], -v[136:137]
	v_fma_f64 v[136:137], v[211:212], s[2:3], v[136:137]
	v_mul_f64 v[134:135], v[237:238], s[30:31]
	v_add_f64 v[102:103], v[161:162], v[102:103]
	v_mul_f64 v[161:162], v[247:248], s[16:17]
	v_add_f64 v[126:127], v[128:129], v[126:127]
	v_add_f64 v[100:101], v[163:164], v[100:101]
	v_fma_f64 v[163:164], v[231:232], s[24:25], v[177:178]
	v_fma_f64 v[177:178], v[231:232], s[24:25], -v[177:178]
	v_add_f64 v[118:119], v[165:166], v[118:119]
	v_add_f64 v[108:109], v[136:137], v[108:109]
	v_fma_f64 v[179:180], v[233:234], s[24:25], -v[134:135]
	v_fma_f64 v[134:135], v[233:234], s[24:25], v[134:135]
	v_fma_f64 v[165:166], v[209:210], s[2:3], v[167:168]
	v_fma_f64 v[167:168], v[209:210], s[2:3], -v[167:168]
	v_fma_f64 v[136:137], v[219:220], s[14:15], v[173:174]
	v_fma_f64 v[173:174], v[219:220], s[14:15], -v[173:174]
	v_add_f64 v[118:119], v[171:172], v[118:119]
	v_add_f64 v[108:109], v[122:123], v[108:109]
	v_fma_f64 v[171:172], v[233:234], s[40:41], -v[138:139]
	v_fma_f64 v[138:139], v[233:234], s[40:41], v[138:139]
	v_add_f64 v[128:129], v[165:166], v[130:131]
	v_add_f64 v[114:115], v[167:168], v[114:115]
	v_fma_f64 v[130:131], v[223:224], s[14:15], -v[169:170]
	v_fma_f64 v[165:166], v[219:220], s[28:29], v[175:176]
	v_mul_f64 v[167:168], v[237:238], s[16:17]
	v_fma_f64 v[175:176], v[219:220], s[28:29], -v[175:176]
	v_fma_f64 v[169:170], v[223:224], s[14:15], v[169:170]
	v_add_f64 v[126:127], v[136:137], v[126:127]
	v_fma_f64 v[122:123], v[231:232], s[2:3], v[161:162]
	v_fma_f64 v[161:162], v[231:232], s[2:3], -v[161:162]
	v_add_f64 v[100:101], v[173:174], v[100:101]
	v_add_f64 v[173:174], v[110:111], v[96:97]
	;; [unrolled: 1-line block ×5, first 2 shown]
	s_clause 0x1
	buffer_load_dword v0, off, s[60:63], 0 offset:8
	buffer_load_dword v1, off, s[60:63], 0 offset:4
	v_mul_f64 v[179:180], v[249:250], s[18:19]
	v_add_f64 v[124:125], v[130:131], v[124:125]
	v_add_f64 v[128:129], v[165:166], v[128:129]
	v_fma_f64 v[112:113], v[233:234], s[2:3], -v[167:168]
	v_add_f64 v[114:115], v[175:176], v[114:115]
	v_mul_f64 v[175:176], v[249:250], s[26:27]
	v_mul_f64 v[130:131], v[249:250], s[20:21]
	v_add_f64 v[136:137], v[171:172], v[4:5]
	v_fma_f64 v[165:166], v[231:232], s[40:41], v[183:184]
	v_mul_f64 v[171:172], v[249:250], s[48:49]
	v_fma_f64 v[183:184], v[231:232], s[40:41], -v[183:184]
	v_mul_f64 v[4:5], v[191:192], s[20:21]
	v_add_f64 v[102:103], v[169:170], v[102:103]
	v_mul_f64 v[169:170], v[249:250], s[16:17]
	v_mul_f64 v[191:192], v[191:192], s[16:17]
	v_fma_f64 v[167:168], v[233:234], s[2:3], v[167:168]
	v_add_f64 v[138:139], v[138:139], v[106:107]
	v_add_f64 v[122:123], v[122:123], v[126:127]
	;; [unrolled: 1-line block ×4, first 2 shown]
	v_fma_f64 v[110:111], v[243:244], s[12:13], -v[179:180]
	v_fma_f64 v[179:180], v[243:244], s[12:13], v[179:180]
	v_add_f64 v[126:127], v[163:164], v[128:129]
	v_add_f64 v[112:113], v[112:113], v[124:125]
	;; [unrolled: 1-line block ×3, first 2 shown]
	v_fma_f64 v[106:107], v[243:244], s[22:23], -v[175:176]
	v_fma_f64 v[124:125], v[243:244], s[14:15], -v[130:131]
	v_fma_f64 v[130:131], v[243:244], s[14:15], v[130:131]
	v_add_f64 v[128:129], v[165:166], v[98:99]
	v_fma_f64 v[96:97], v[243:244], s[46:47], -v[171:172]
	v_add_f64 v[120:121], v[183:184], v[120:121]
	v_fma_f64 v[183:184], v[239:240], s[12:13], v[187:188]
	v_fma_f64 v[165:166], v[239:240], s[14:15], v[4:5]
	v_fma_f64 v[98:99], v[243:244], s[2:3], -v[169:170]
	v_fma_f64 v[196:197], v[239:240], s[2:3], v[191:192]
	v_fma_f64 v[163:164], v[239:240], s[14:15], -v[4:5]
	v_fma_f64 v[171:172], v[243:244], s[46:47], v[171:172]
	v_fma_f64 v[169:170], v[243:244], s[2:3], v[169:170]
	v_fma_f64 v[191:192], v[239:240], s[2:3], -v[191:192]
	v_fma_f64 v[175:176], v[243:244], s[22:23], v[175:176]
	v_add_f64 v[167:168], v[167:168], v[102:103]
	v_fma_f64 v[187:188], v[239:240], s[12:13], -v[187:188]
	v_add_f64 v[100:101], v[193:194], v[126:127]
	v_add_f64 v[102:103], v[106:107], v[118:119]
	;; [unrolled: 1-line block ×19, first 2 shown]
	s_waitcnt vmcnt(1)
	v_and_b32_e32 v0, 0xffff, v0
	s_waitcnt vmcnt(0)
	v_lshl_add_u32 v0, v0, 4, v1
	ds_write_b128 v0, v[108:111]
	ds_write_b128 v0, v[104:107] offset:16
	ds_write_b128 v0, v[100:103] offset:32
	;; [unrolled: 1-line block ×16, first 2 shown]
.LBB0_17:
	s_or_b32 exec_lo, exec_lo, s1
	s_waitcnt lgkmcnt(0)
	s_barrier
	buffer_gl0_inv
	ds_read_b128 v[0:3], v255
	ds_read_b128 v[4:7], v255 offset:1088
	ds_read_b128 v[96:99], v255 offset:2992
	;; [unrolled: 1-line block ×7, first 2 shown]
	s_and_saveexec_b32 s1, s0
	s_cbranch_execz .LBB0_19
; %bb.18:
	ds_read_b128 v[152:155], v255 offset:2176
	ds_read_b128 v[156:159], v255 offset:5168
	;; [unrolled: 1-line block ×4, first 2 shown]
.LBB0_19:
	s_or_b32 exec_lo, exec_lo, s1
	s_waitcnt lgkmcnt(5)
	v_mul_f64 v[108:109], v[86:87], v[98:99]
	v_mul_f64 v[86:87], v[86:87], v[96:97]
	s_waitcnt lgkmcnt(3)
	v_mul_f64 v[110:111], v[82:83], v[102:103]
	v_mul_f64 v[82:83], v[82:83], v[100:101]
	;; [unrolled: 3-line block ×3, first 2 shown]
	v_mul_f64 v[114:115], v[78:79], v[10:11]
	v_mul_f64 v[116:117], v[70:71], v[14:15]
	;; [unrolled: 1-line block ×3, first 2 shown]
	s_waitcnt lgkmcnt(0)
	v_mul_f64 v[118:119], v[66:67], v[18:19]
	v_mul_f64 v[78:79], v[78:79], v[8:9]
	;; [unrolled: 1-line block ×3, first 2 shown]
	s_barrier
	buffer_gl0_inv
	v_fma_f64 v[96:97], v[84:85], v[96:97], v[108:109]
	v_fma_f64 v[84:85], v[84:85], v[98:99], -v[86:87]
	v_fma_f64 v[86:87], v[80:81], v[100:101], v[110:111]
	v_fma_f64 v[80:81], v[80:81], v[102:103], -v[82:83]
	;; [unrolled: 2-line block ×3, first 2 shown]
	v_fma_f64 v[8:9], v[76:77], v[8:9], v[114:115]
	v_fma_f64 v[12:13], v[68:69], v[12:13], v[116:117]
	v_fma_f64 v[14:15], v[68:69], v[14:15], -v[70:71]
	v_fma_f64 v[16:17], v[64:65], v[16:17], v[118:119]
	v_fma_f64 v[10:11], v[76:77], v[10:11], -v[78:79]
	v_fma_f64 v[18:19], v[64:65], v[18:19], -v[66:67]
	v_add_f64 v[64:65], v[0:1], -v[86:87]
	v_add_f64 v[66:67], v[2:3], -v[80:81]
	;; [unrolled: 1-line block ×8, first 2 shown]
	v_fma_f64 v[74:75], v[0:1], 2.0, -v[64:65]
	v_fma_f64 v[78:79], v[2:3], 2.0, -v[66:67]
	v_add_f64 v[2:3], v[66:67], -v[68:69]
	v_fma_f64 v[18:19], v[84:85], 2.0, -v[70:71]
	v_fma_f64 v[14:15], v[96:97], 2.0, -v[68:69]
	v_fma_f64 v[80:81], v[4:5], 2.0, -v[72:73]
	v_fma_f64 v[82:83], v[6:7], 2.0, -v[76:77]
	v_fma_f64 v[6:7], v[8:9], 2.0, -v[16:17]
	v_add_f64 v[0:1], v[64:65], v[70:71]
	v_fma_f64 v[84:85], v[10:11], 2.0, -v[12:13]
	v_add_f64 v[4:5], v[72:73], v[12:13]
	v_add_f64 v[10:11], v[78:79], -v[18:19]
	v_fma_f64 v[18:19], v[66:67], 2.0, -v[2:3]
	v_add_f64 v[8:9], v[74:75], -v[14:15]
	v_add_f64 v[12:13], v[80:81], -v[6:7]
	v_add_f64 v[6:7], v[76:77], -v[16:17]
	v_fma_f64 v[16:17], v[64:65], 2.0, -v[0:1]
	v_add_f64 v[14:15], v[82:83], -v[84:85]
	v_fma_f64 v[64:65], v[72:73], 2.0, -v[4:5]
	v_fma_f64 v[70:71], v[78:79], 2.0, -v[10:11]
	;; [unrolled: 1-line block ×5, first 2 shown]
	buffer_load_dword v76, off, s[60:63], 0 offset:36 ; 4-byte Folded Reload
	v_fma_f64 v[74:75], v[82:83], 2.0, -v[14:15]
	s_waitcnt vmcnt(0)
	ds_write_b128 v76, v[0:3] offset:816
	ds_write_b128 v76, v[16:19] offset:272
	;; [unrolled: 1-line block ×3, first 2 shown]
	ds_write_b128 v76, v[68:71]
	buffer_load_dword v0, off, s[60:63], 0 offset:28 ; 4-byte Folded Reload
	s_waitcnt vmcnt(0)
	ds_write_b128 v0, v[72:75]
	ds_write_b128 v0, v[64:67] offset:272
	ds_write_b128 v0, v[12:15] offset:544
	;; [unrolled: 1-line block ×3, first 2 shown]
	s_and_saveexec_b32 s1, s0
	s_cbranch_execz .LBB0_21
; %bb.20:
	v_mul_f64 v[0:1], v[26:27], v[148:149]
	v_mul_f64 v[2:3], v[30:31], v[158:159]
	;; [unrolled: 1-line block ×6, first 2 shown]
	v_fma_f64 v[0:1], v[24:25], v[150:151], -v[0:1]
	v_fma_f64 v[2:3], v[28:29], v[156:157], v[2:3]
	v_fma_f64 v[4:5], v[28:29], v[158:159], -v[4:5]
	v_fma_f64 v[6:7], v[20:21], v[146:147], -v[6:7]
	v_fma_f64 v[8:9], v[24:25], v[148:149], v[8:9]
	v_fma_f64 v[10:11], v[20:21], v[144:145], v[10:11]
	v_add_f64 v[12:13], v[154:155], -v[0:1]
	v_add_f64 v[0:1], v[4:5], -v[6:7]
	;; [unrolled: 1-line block ×4, first 2 shown]
	v_fma_f64 v[14:15], v[154:155], 2.0, -v[12:13]
	v_fma_f64 v[4:5], v[4:5], 2.0, -v[0:1]
	;; [unrolled: 1-line block ×4, first 2 shown]
	v_add_f64 v[2:3], v[12:13], -v[6:7]
	v_add_f64 v[0:1], v[8:9], v[0:1]
	v_add_f64 v[6:7], v[14:15], -v[4:5]
	v_add_f64 v[4:5], v[16:17], -v[10:11]
	v_fma_f64 v[10:11], v[12:13], 2.0, -v[2:3]
	v_fma_f64 v[8:9], v[8:9], 2.0, -v[0:1]
	;; [unrolled: 1-line block ×4, first 2 shown]
	buffer_load_dword v17, off, s[60:63], 0 offset:12 ; 4-byte Folded Reload
	v_mov_b32_e32 v16, 0x44
	s_waitcnt vmcnt(0)
	v_mul_u32_u24_sdwa v16, v17, v16 dst_sel:DWORD dst_unused:UNUSED_PAD src0_sel:WORD_0 src1_sel:DWORD
	buffer_load_dword v17, off, s[60:63], 0 offset:20 ; 4-byte Folded Reload
	s_waitcnt vmcnt(0)
	v_add_nc_u32_e32 v16, v16, v17
	buffer_load_dword v17, off, s[60:63], 0 offset:4 ; 4-byte Folded Reload
	s_waitcnt vmcnt(0)
	v_lshl_add_u32 v16, v16, 4, v17
	ds_write_b128 v16, v[8:11] offset:272
	ds_write_b128 v16, v[4:7] offset:544
	ds_write_b128 v16, v[12:15]
	ds_write_b128 v16, v[0:3] offset:816
.LBB0_21:
	s_or_b32 exec_lo, exec_lo, s1
	s_waitcnt lgkmcnt(0)
	s_barrier
	buffer_gl0_inv
	ds_read_b128 v[4:7], v255 offset:1088
	ds_read_b128 v[0:3], v255
	ds_read_b128 v[8:11], v255 offset:2176
	ds_read_b128 v[12:15], v255 offset:3264
	;; [unrolled: 1-line block ×9, first 2 shown]
	s_mov_b32 s2, 0xf8bb580b
	s_mov_b32 s12, 0x8764f0ba
	;; [unrolled: 1-line block ×9, first 2 shown]
	s_waitcnt lgkmcnt(10)
	v_mul_f64 v[76:77], v[62:63], v[6:7]
	v_mul_f64 v[62:63], v[62:63], v[4:5]
	s_waitcnt lgkmcnt(8)
	v_mul_f64 v[80:81], v[42:43], v[10:11]
	v_mul_f64 v[42:43], v[42:43], v[8:9]
	;; [unrolled: 3-line block ×3, first 2 shown]
	s_mov_b32 s18, 0xd9c712b6
	s_mov_b32 s24, 0xbb3a28a1
	s_waitcnt lgkmcnt(2)
	v_mul_f64 v[86:87], v[58:59], v[66:67]
	v_mul_f64 v[58:59], v[58:59], v[64:65]
	s_waitcnt lgkmcnt(0)
	v_mul_f64 v[78:79], v[90:91], v[72:73]
	v_mul_f64 v[82:83], v[94:95], v[68:69]
	s_mov_b32 s28, 0x7f775887
	s_mov_b32 s30, 0xfd768dbf
	;; [unrolled: 1-line block ×10, first 2 shown]
	v_fma_f64 v[76:77], v[60:61], v[4:5], v[76:77]
	v_fma_f64 v[60:61], v[60:61], v[6:7], -v[62:63]
	v_fma_f64 v[8:9], v[40:41], v[8:9], v[80:81]
	v_fma_f64 v[10:11], v[40:41], v[10:11], -v[42:43]
	v_mul_f64 v[6:7], v[90:91], v[74:75]
	v_mul_f64 v[62:63], v[94:95], v[70:71]
	;; [unrolled: 1-line block ×5, first 2 shown]
	v_fma_f64 v[12:13], v[36:37], v[12:13], v[84:85]
	v_fma_f64 v[14:15], v[36:37], v[14:15], -v[38:39]
	v_fma_f64 v[36:37], v[56:57], v[64:65], v[86:87]
	v_mul_f64 v[34:35], v[34:35], v[16:17]
	v_fma_f64 v[38:39], v[56:57], v[66:67], -v[58:59]
	v_fma_f64 v[4:5], v[88:89], v[74:75], -v[78:79]
	v_mul_f64 v[74:75], v[50:51], v[22:23]
	v_mul_f64 v[50:51], v[50:51], v[20:21]
	;; [unrolled: 1-line block ×4, first 2 shown]
	s_mov_b32 s0, s2
	s_mov_b32 s27, 0x3fefac9e
	;; [unrolled: 1-line block ×3, first 2 shown]
	v_add_f64 v[40:41], v[0:1], v[76:77]
	v_add_f64 v[42:43], v[2:3], v[60:61]
	s_mov_b32 s26, s20
	s_mov_b32 s38, s30
	v_fma_f64 v[6:7], v[88:89], v[72:73], v[6:7]
	v_fma_f64 v[62:63], v[92:93], v[68:69], v[62:63]
	;; [unrolled: 1-line block ×4, first 2 shown]
	v_fma_f64 v[30:31], v[52:53], v[30:31], -v[54:55]
	v_fma_f64 v[68:69], v[92:93], v[70:71], -v[82:83]
	s_mov_b32 s17, 0x3fed1bb4
	v_add_f64 v[52:53], v[12:13], v[36:37]
	v_add_f64 v[56:57], v[12:13], -v[36:37]
	v_fma_f64 v[18:19], v[32:33], v[18:19], -v[34:35]
	v_add_f64 v[54:55], v[14:15], v[38:39]
	v_add_f64 v[58:59], v[14:15], -v[38:39]
	v_add_f64 v[32:33], v[60:61], -v[4:5]
	v_add_f64 v[34:35], v[60:61], v[4:5]
	v_fma_f64 v[20:21], v[48:49], v[20:21], v[74:75]
	v_fma_f64 v[22:23], v[48:49], v[22:23], -v[50:51]
	v_fma_f64 v[24:25], v[44:45], v[24:25], v[78:79]
	v_fma_f64 v[26:27], v[44:45], v[26:27], -v[46:47]
	v_add_f64 v[40:41], v[40:41], v[8:9]
	v_add_f64 v[42:43], v[42:43], v[10:11]
	s_mov_b32 s35, 0x3fe82f19
	s_mov_b32 s16, s14
	v_add_f64 v[44:45], v[76:77], v[6:7]
	v_add_f64 v[46:47], v[76:77], -v[6:7]
	v_add_f64 v[48:49], v[8:9], v[62:63]
	v_add_f64 v[8:9], v[8:9], -v[62:63]
	s_mov_b32 s34, s24
	v_add_f64 v[50:51], v[10:11], -v[68:69]
	v_add_f64 v[10:11], v[10:11], v[68:69]
	v_add_f64 v[60:61], v[16:17], v[28:29]
	;; [unrolled: 1-line block ×3, first 2 shown]
	v_mul_f64 v[100:101], v[54:55], s[22:23]
	v_mul_f64 v[98:99], v[58:59], s[20:21]
	;; [unrolled: 1-line block ×8, first 2 shown]
	v_add_f64 v[12:13], v[40:41], v[12:13]
	v_add_f64 v[14:15], v[42:43], v[14:15]
	v_mul_f64 v[40:41], v[32:33], s[20:21]
	v_mul_f64 v[42:43], v[34:35], s[22:23]
	;; [unrolled: 1-line block ×4, first 2 shown]
	v_add_f64 v[66:67], v[18:19], -v[30:31]
	v_mul_f64 v[106:107], v[54:55], s[18:19]
	v_mul_f64 v[108:109], v[58:59], s[2:3]
	;; [unrolled: 1-line block ×9, first 2 shown]
	v_fma_f64 v[112:113], v[44:45], s[12:13], v[70:71]
	v_fma_f64 v[114:115], v[46:47], s[0:1], v[72:73]
	v_mul_f64 v[96:97], v[10:11], s[22:23]
	v_mul_f64 v[50:51], v[50:51], s[0:1]
	;; [unrolled: 1-line block ×3, first 2 shown]
	v_fma_f64 v[70:71], v[44:45], s[12:13], -v[70:71]
	v_add_f64 v[12:13], v[12:13], v[16:17]
	v_add_f64 v[14:15], v[14:15], v[18:19]
	v_fma_f64 v[120:121], v[44:45], s[22:23], v[40:41]
	v_fma_f64 v[122:123], v[46:47], s[26:27], v[42:43]
	v_fma_f64 v[40:41], v[44:45], s[22:23], -v[40:41]
	v_fma_f64 v[42:43], v[46:47], s[20:21], v[42:43]
	v_fma_f64 v[72:73], v[46:47], s[2:3], v[72:73]
	;; [unrolled: 1-line block ×4, first 2 shown]
	v_fma_f64 v[74:75], v[44:45], s[18:19], -v[74:75]
	v_fma_f64 v[76:77], v[46:47], s[14:15], v[76:77]
	v_fma_f64 v[124:125], v[44:45], s[28:29], v[78:79]
	v_fma_f64 v[126:127], v[46:47], s[34:35], v[80:81]
	v_fma_f64 v[78:79], v[44:45], s[28:29], -v[78:79]
	v_fma_f64 v[80:81], v[46:47], s[24:25], v[80:81]
	v_fma_f64 v[128:129], v[44:45], s[36:37], v[32:33]
	v_fma_f64 v[130:131], v[46:47], s[38:39], v[34:35]
	v_fma_f64 v[32:33], v[44:45], s[36:37], -v[32:33]
	v_fma_f64 v[34:35], v[46:47], s[30:31], v[34:35]
	v_fma_f64 v[44:45], v[48:49], s[18:19], v[82:83]
	v_fma_f64 v[46:47], v[8:9], s[16:17], v[84:85]
	v_add_f64 v[112:113], v[0:1], v[112:113]
	v_add_f64 v[12:13], v[12:13], v[20:21]
	v_add_f64 v[14:15], v[14:15], v[22:23]
	v_add_f64 v[114:115], v[2:3], v[114:115]
	v_mul_f64 v[18:19], v[58:59], s[16:17]
	v_fma_f64 v[136:137], v[48:49], s[36:37], v[90:91]
	v_fma_f64 v[138:139], v[8:9], s[30:31], v[92:93]
	v_fma_f64 v[90:91], v[48:49], s[36:37], -v[90:91]
	v_fma_f64 v[92:93], v[8:9], s[38:39], v[92:93]
	v_add_f64 v[40:41], v[0:1], v[40:41]
	v_add_f64 v[42:43], v[2:3], v[42:43]
	v_fma_f64 v[82:83], v[48:49], s[18:19], -v[82:83]
	v_fma_f64 v[84:85], v[8:9], s[14:15], v[84:85]
	v_fma_f64 v[132:133], v[48:49], s[28:29], v[86:87]
	v_fma_f64 v[134:135], v[8:9], s[34:35], v[88:89]
	v_fma_f64 v[86:87], v[48:49], s[28:29], -v[86:87]
	v_fma_f64 v[88:89], v[8:9], s[24:25], v[88:89]
	v_fma_f64 v[140:141], v[48:49], s[22:23], v[94:95]
	v_fma_f64 v[142:143], v[8:9], s[20:21], v[96:97]
	;; [unrolled: 4-line block ×3, first 2 shown]
	v_add_f64 v[12:13], v[12:13], v[24:25]
	v_add_f64 v[14:15], v[14:15], v[26:27]
	v_fma_f64 v[48:49], v[48:49], s[12:13], -v[50:51]
	v_fma_f64 v[8:9], v[8:9], s[0:1], v[10:11]
	v_fma_f64 v[10:11], v[52:53], s[22:23], v[98:99]
	;; [unrolled: 1-line block ×3, first 2 shown]
	v_add_f64 v[74:75], v[0:1], v[74:75]
	v_add_f64 v[76:77], v[2:3], v[76:77]
	;; [unrolled: 1-line block ×4, first 2 shown]
	v_mul_f64 v[102:103], v[58:59], s[38:39]
	v_mul_f64 v[110:111], v[54:55], s[12:13]
	v_mul_f64 v[104:105], v[54:55], s[36:37]
	v_mul_f64 v[58:59], v[58:59], s[24:25]
	v_fma_f64 v[152:153], v[52:53], s[18:19], v[18:19]
	v_fma_f64 v[154:155], v[56:57], s[14:15], v[106:107]
	v_fma_f64 v[18:19], v[52:53], s[18:19], -v[18:19]
	v_fma_f64 v[106:107], v[56:57], s[16:17], v[106:107]
	v_add_f64 v[40:41], v[90:91], v[40:41]
	v_add_f64 v[42:43], v[92:93], v[42:43]
	v_mul_f64 v[54:55], v[54:55], s[28:29]
	v_fma_f64 v[98:99], v[52:53], s[22:23], -v[98:99]
	v_add_f64 v[12:13], v[12:13], v[28:29]
	v_add_f64 v[14:15], v[14:15], v[30:31]
	;; [unrolled: 1-line block ×16, first 2 shown]
	v_add_f64 v[16:17], v[16:17], -v[28:29]
	v_mul_f64 v[28:29], v[66:67], s[24:25]
	v_fma_f64 v[100:101], v[56:57], s[20:21], v[100:101]
	v_fma_f64 v[148:149], v[52:53], s[36:37], v[102:103]
	;; [unrolled: 1-line block ×3, first 2 shown]
	v_fma_f64 v[102:103], v[52:53], s[36:37], -v[102:103]
	v_add_f64 v[12:13], v[12:13], v[36:37]
	v_add_f64 v[14:15], v[14:15], v[38:39]
	;; [unrolled: 1-line block ×10, first 2 shown]
	v_fma_f64 v[104:105], v[56:57], s[38:39], v[104:105]
	v_add_f64 v[78:79], v[94:95], v[78:79]
	v_add_f64 v[0:1], v[48:49], v[0:1]
	;; [unrolled: 1-line block ×5, first 2 shown]
	v_fma_f64 v[34:35], v[52:53], s[12:13], v[108:109]
	v_mul_f64 v[32:33], v[64:65], s[28:29]
	v_fma_f64 v[48:49], v[56:57], s[0:1], v[110:111]
	v_mul_f64 v[50:51], v[66:67], s[26:27]
	v_add_f64 v[80:81], v[96:97], v[80:81]
	v_fma_f64 v[88:89], v[56:57], s[2:3], v[110:111]
	v_add_f64 v[12:13], v[12:13], v[62:63]
	v_mul_f64 v[62:63], v[64:65], s[22:23]
	v_add_f64 v[14:15], v[14:15], v[68:69]
	v_fma_f64 v[68:69], v[52:53], s[12:13], -v[108:109]
	v_add_f64 v[18:19], v[18:19], v[40:41]
	v_add_f64 v[40:41], v[106:107], v[42:43]
	v_fma_f64 v[42:43], v[52:53], s[28:29], -v[58:59]
	v_add_f64 v[72:73], v[136:137], v[118:119]
	v_fma_f64 v[90:91], v[52:53], s[28:29], v[58:59]
	v_mul_f64 v[58:59], v[66:67], s[2:3]
	v_add_f64 v[74:75], v[138:139], v[120:121]
	v_add_f64 v[30:31], v[98:99], v[30:31]
	v_fma_f64 v[92:93], v[56:57], s[34:35], v[54:55]
	v_fma_f64 v[52:53], v[56:57], s[24:25], v[54:55]
	;; [unrolled: 1-line block ×3, first 2 shown]
	v_fma_f64 v[28:29], v[60:61], s[28:29], -v[28:29]
	v_add_f64 v[34:35], v[34:35], v[76:77]
	v_mul_f64 v[76:77], v[64:65], s[12:13]
	v_add_f64 v[36:37], v[100:101], v[36:37]
	v_add_f64 v[38:39], v[148:149], v[38:39]
	v_fma_f64 v[56:57], v[16:17], s[34:35], v[32:33]
	v_add_f64 v[48:49], v[48:49], v[82:83]
	v_fma_f64 v[32:33], v[16:17], s[24:25], v[32:33]
	v_fma_f64 v[82:83], v[60:61], s[22:23], v[50:51]
	v_add_f64 v[44:45], v[150:151], v[44:45]
	v_add_f64 v[46:47], v[102:103], v[46:47]
	v_fma_f64 v[94:95], v[16:17], s[20:21], v[62:63]
	v_fma_f64 v[50:51], v[60:61], s[22:23], -v[50:51]
	v_add_f64 v[70:71], v[104:105], v[70:71]
	v_add_f64 v[68:69], v[68:69], v[78:79]
	v_fma_f64 v[62:63], v[16:17], s[26:27], v[62:63]
	v_add_f64 v[78:79], v[88:89], v[80:81]
	v_mul_f64 v[80:81], v[66:67], s[30:31]
	v_mul_f64 v[88:89], v[64:65], s[36:37]
	;; [unrolled: 1-line block ×4, first 2 shown]
	v_add_f64 v[0:1], v[42:43], v[0:1]
	v_add_f64 v[42:43], v[22:23], -v[26:27]
	v_add_f64 v[22:23], v[22:23], v[26:27]
	v_add_f64 v[84:85], v[144:145], v[126:127]
	;; [unrolled: 1-line block ×4, first 2 shown]
	v_fma_f64 v[26:27], v[60:61], s[12:13], v[58:59]
	v_add_f64 v[74:75], v[154:155], v[74:75]
	v_add_f64 v[28:29], v[28:29], v[30:31]
	v_fma_f64 v[30:31], v[16:17], s[0:1], v[76:77]
	v_add_f64 v[2:3], v[52:53], v[2:3]
	v_add_f64 v[52:53], v[32:33], v[36:37]
	;; [unrolled: 1-line block ×3, first 2 shown]
	v_fma_f64 v[38:39], v[60:61], s[12:13], -v[58:59]
	v_add_f64 v[36:37], v[94:95], v[44:45]
	v_add_f64 v[44:45], v[50:51], v[46:47]
	v_fma_f64 v[50:51], v[16:17], s[2:3], v[76:77]
	v_add_f64 v[8:9], v[54:55], v[8:9]
	v_add_f64 v[10:11], v[56:57], v[10:11]
	;; [unrolled: 1-line block ×3, first 2 shown]
	v_fma_f64 v[54:55], v[60:61], s[36:37], v[80:81]
	v_fma_f64 v[56:57], v[16:17], s[38:39], v[88:89]
	v_fma_f64 v[58:59], v[60:61], s[36:37], -v[80:81]
	v_fma_f64 v[62:63], v[16:17], s[30:31], v[88:89]
	v_fma_f64 v[70:71], v[60:61], s[18:19], v[66:67]
	;; [unrolled: 1-line block ×3, first 2 shown]
	v_fma_f64 v[60:61], v[60:61], s[18:19], -v[66:67]
	v_fma_f64 v[16:17], v[16:17], s[16:17], v[64:65]
	v_add_f64 v[64:65], v[20:21], v[24:25]
	v_add_f64 v[20:21], v[20:21], -v[24:25]
	v_mul_f64 v[24:25], v[42:43], s[30:31]
	v_mul_f64 v[66:67], v[22:23], s[36:37]
	v_add_f64 v[84:85], v[90:91], v[84:85]
	v_add_f64 v[86:87], v[92:93], v[86:87]
	;; [unrolled: 1-line block ×3, first 2 shown]
	v_mul_f64 v[72:73], v[42:43], s[0:1]
	v_mul_f64 v[80:81], v[22:23], s[12:13]
	v_add_f64 v[30:31], v[30:31], v[74:75]
	v_mul_f64 v[74:75], v[42:43], s[24:25]
	v_mul_f64 v[82:83], v[22:23], s[28:29]
	v_add_f64 v[18:19], v[38:39], v[18:19]
	;; [unrolled: 3-line block ×4, first 2 shown]
	v_add_f64 v[42:43], v[56:57], v[48:49]
	v_add_f64 v[48:49], v[58:59], v[68:69]
	v_add_f64 v[54:55], v[62:63], v[78:79]
	v_add_f64 v[62:63], v[16:17], v[2:3]
	v_add_f64 v[60:61], v[60:61], v[0:1]
	v_fma_f64 v[16:17], v[64:65], s[36:37], v[24:25]
	v_fma_f64 v[68:69], v[20:21], s[38:39], v[66:67]
	v_add_f64 v[56:57], v[70:71], v[84:85]
	v_add_f64 v[58:59], v[76:77], v[86:87]
	v_fma_f64 v[24:25], v[64:65], s[36:37], -v[24:25]
	v_fma_f64 v[70:71], v[64:65], s[12:13], v[72:73]
	v_fma_f64 v[76:77], v[20:21], s[2:3], v[80:81]
	v_fma_f64 v[72:73], v[64:65], s[12:13], -v[72:73]
	v_fma_f64 v[78:79], v[64:65], s[28:29], v[74:75]
	v_fma_f64 v[84:85], v[20:21], s[34:35], v[82:83]
	;; [unrolled: 3-line block ×5, first 2 shown]
	v_fma_f64 v[82:83], v[20:21], s[24:25], v[82:83]
	v_fma_f64 v[80:81], v[20:21], s[0:1], v[80:81]
	;; [unrolled: 1-line block ×3, first 2 shown]
	v_add_f64 v[0:1], v[12:13], v[6:7]
	v_add_f64 v[2:3], v[14:15], v[4:5]
	v_add_f64 v[4:5], v[16:17], v[8:9]
	v_add_f64 v[6:7], v[68:69], v[10:11]
	v_add_f64 v[8:9], v[24:25], v[28:29]
	v_add_f64 v[12:13], v[70:71], v[32:33]
	v_add_f64 v[14:15], v[76:77], v[36:37]
	v_add_f64 v[16:17], v[72:73], v[44:45]
	v_add_f64 v[20:21], v[78:79], v[26:27]
	v_add_f64 v[22:23], v[84:85], v[30:31]
	v_add_f64 v[24:25], v[74:75], v[18:19]
	v_add_f64 v[28:29], v[86:87], v[34:35]
	v_add_f64 v[30:31], v[90:91], v[42:43]
	v_add_f64 v[32:33], v[38:39], v[48:49]
	v_add_f64 v[36:37], v[92:93], v[56:57]
	v_add_f64 v[38:39], v[94:95], v[58:59]
	v_add_f64 v[40:41], v[40:41], v[60:61]
	v_add_f64 v[42:43], v[64:65], v[62:63]
	v_add_f64 v[34:35], v[88:89], v[54:55]
	v_add_f64 v[26:27], v[82:83], v[50:51]
	v_add_f64 v[18:19], v[80:81], v[46:47]
	v_add_f64 v[10:11], v[66:67], v[52:53]
	ds_write_b128 v195, v[0:3]
	ds_write_b128 v195, v[4:7] offset:1088
	ds_write_b128 v195, v[12:15] offset:2176
	;; [unrolled: 1-line block ×10, first 2 shown]
	s_waitcnt lgkmcnt(0)
	s_barrier
	buffer_gl0_inv
	s_and_b32 exec_lo, exec_lo, vcc_lo
	s_cbranch_execz .LBB0_23
; %bb.22:
	buffer_load_dword v16, off, s[60:63], 0 ; 4-byte Folded Reload
	v_mad_u64_u32 v[14:15], null, s6, v160, 0
	s_mov_b32 s0, 0xb8d015e7
	s_mov_b32 s1, 0x3f55e75b
	s_mul_i32 s2, s5, 0x2c0
	s_mul_hi_u32 s6, s4, 0x2c0
	s_mul_i32 s3, s4, 0x2c0
	s_add_i32 s2, s6, s2
	s_waitcnt vmcnt(0)
	v_lshlrev_b32_e32 v18, 4, v16
	global_load_dwordx4 v[0:3], v18, s[8:9]
	ds_read_b128 v[4:7], v195
	ds_read_b128 v[8:11], v195 offset:704
	v_add_co_u32 v20, s6, s8, v18
	v_add_co_ci_u32_e64 v21, null, s9, 0, s6
	s_waitcnt vmcnt(0) lgkmcnt(1)
	v_mul_f64 v[12:13], v[6:7], v[2:3]
	v_mul_f64 v[2:3], v[4:5], v[2:3]
	v_fma_f64 v[4:5], v[4:5], v[0:1], v[12:13]
	v_fma_f64 v[0:1], v[0:1], v[6:7], -v[2:3]
	v_mad_u64_u32 v[6:7], null, s4, v16, 0
	v_mov_b32_e32 v2, v15
	v_mov_b32_e32 v3, v7
	v_mad_u64_u32 v[12:13], null, s7, v160, v[2:3]
	v_mad_u64_u32 v[16:17], null, s5, v16, v[3:4]
	v_mov_b32_e32 v15, v12
	v_mul_f64 v[2:3], v[4:5], s[0:1]
	v_mul_f64 v[4:5], v[0:1], s[0:1]
	v_lshlrev_b64 v[0:1], 4, v[14:15]
	v_mov_b32_e32 v7, v16
	v_add_co_u32 v0, vcc_lo, s10, v0
	v_lshlrev_b64 v[6:7], 4, v[6:7]
	v_add_co_ci_u32_e32 v1, vcc_lo, s11, v1, vcc_lo
	v_add_co_u32 v6, vcc_lo, v0, v6
	v_add_co_ci_u32_e32 v7, vcc_lo, v1, v7, vcc_lo
	v_add_co_u32 v14, vcc_lo, v6, s3
	global_store_dwordx4 v[6:7], v[2:5], off
	global_load_dwordx4 v[2:5], v18, s[8:9] offset:704
	v_add_co_ci_u32_e32 v15, vcc_lo, s2, v7, vcc_lo
	s_waitcnt vmcnt(0) lgkmcnt(0)
	v_mul_f64 v[12:13], v[10:11], v[4:5]
	v_mul_f64 v[4:5], v[8:9], v[4:5]
	v_fma_f64 v[8:9], v[8:9], v[2:3], v[12:13]
	v_fma_f64 v[4:5], v[2:3], v[10:11], -v[4:5]
	v_mul_f64 v[2:3], v[8:9], s[0:1]
	v_mul_f64 v[4:5], v[4:5], s[0:1]
	global_store_dwordx4 v[14:15], v[2:5], off
	global_load_dwordx4 v[2:5], v18, s[8:9] offset:1408
	ds_read_b128 v[6:9], v195 offset:1408
	ds_read_b128 v[10:13], v195 offset:2112
	s_waitcnt vmcnt(0) lgkmcnt(1)
	v_mul_f64 v[16:17], v[8:9], v[4:5]
	v_mul_f64 v[4:5], v[6:7], v[4:5]
	v_fma_f64 v[6:7], v[6:7], v[2:3], v[16:17]
	v_fma_f64 v[4:5], v[2:3], v[8:9], -v[4:5]
	v_mul_f64 v[2:3], v[6:7], s[0:1]
	v_mul_f64 v[4:5], v[4:5], s[0:1]
	v_add_co_u32 v6, vcc_lo, v14, s3
	v_add_co_ci_u32_e32 v7, vcc_lo, s2, v15, vcc_lo
	v_add_co_u32 v14, vcc_lo, 0x800, v20
	v_add_co_ci_u32_e32 v15, vcc_lo, 0, v21, vcc_lo
	;; [unrolled: 2-line block ×3, first 2 shown]
	global_store_dwordx4 v[6:7], v[2:5], off
	global_load_dwordx4 v[2:5], v[14:15], off offset:64
	s_waitcnt vmcnt(0) lgkmcnt(0)
	v_mul_f64 v[8:9], v[12:13], v[4:5]
	v_mul_f64 v[4:5], v[10:11], v[4:5]
	v_fma_f64 v[8:9], v[10:11], v[2:3], v[8:9]
	v_fma_f64 v[4:5], v[2:3], v[12:13], -v[4:5]
	v_mul_f64 v[2:3], v[8:9], s[0:1]
	v_mul_f64 v[4:5], v[4:5], s[0:1]
	global_store_dwordx4 v[16:17], v[2:5], off
	global_load_dwordx4 v[2:5], v[14:15], off offset:768
	ds_read_b128 v[6:9], v195 offset:2816
	ds_read_b128 v[10:13], v195 offset:3520
	s_waitcnt vmcnt(0) lgkmcnt(1)
	v_mul_f64 v[18:19], v[8:9], v[4:5]
	v_mul_f64 v[4:5], v[6:7], v[4:5]
	v_fma_f64 v[6:7], v[6:7], v[2:3], v[18:19]
	v_fma_f64 v[4:5], v[2:3], v[8:9], -v[4:5]
	v_mul_f64 v[2:3], v[6:7], s[0:1]
	v_mul_f64 v[4:5], v[4:5], s[0:1]
	v_add_co_u32 v6, vcc_lo, v16, s3
	v_add_co_ci_u32_e32 v7, vcc_lo, s2, v17, vcc_lo
	global_store_dwordx4 v[6:7], v[2:5], off
	global_load_dwordx4 v[2:5], v[14:15], off offset:1472
	v_add_co_u32 v14, vcc_lo, v6, s3
	v_add_co_ci_u32_e32 v15, vcc_lo, s2, v7, vcc_lo
	v_add_co_u32 v16, vcc_lo, 0x1000, v20
	v_add_co_ci_u32_e32 v17, vcc_lo, 0, v21, vcc_lo
	s_waitcnt vmcnt(0) lgkmcnt(0)
	v_mul_f64 v[8:9], v[12:13], v[4:5]
	v_mul_f64 v[4:5], v[10:11], v[4:5]
	v_fma_f64 v[8:9], v[10:11], v[2:3], v[8:9]
	v_fma_f64 v[4:5], v[2:3], v[12:13], -v[4:5]
	v_mul_f64 v[2:3], v[8:9], s[0:1]
	v_mul_f64 v[4:5], v[4:5], s[0:1]
	global_store_dwordx4 v[14:15], v[2:5], off
	global_load_dwordx4 v[2:5], v[16:17], off offset:128
	ds_read_b128 v[6:9], v195 offset:4224
	ds_read_b128 v[10:13], v195 offset:4928
	s_waitcnt vmcnt(0) lgkmcnt(1)
	v_mul_f64 v[18:19], v[8:9], v[4:5]
	v_mul_f64 v[4:5], v[6:7], v[4:5]
	v_fma_f64 v[6:7], v[6:7], v[2:3], v[18:19]
	v_fma_f64 v[4:5], v[2:3], v[8:9], -v[4:5]
	v_mul_f64 v[2:3], v[6:7], s[0:1]
	v_mul_f64 v[4:5], v[4:5], s[0:1]
	v_add_co_u32 v6, vcc_lo, v14, s3
	v_add_co_ci_u32_e32 v7, vcc_lo, s2, v15, vcc_lo
	v_add_co_u32 v14, vcc_lo, v6, s3
	v_add_co_ci_u32_e32 v15, vcc_lo, s2, v7, vcc_lo
	global_store_dwordx4 v[6:7], v[2:5], off
	global_load_dwordx4 v[2:5], v[16:17], off offset:832
	s_waitcnt vmcnt(0) lgkmcnt(0)
	v_mul_f64 v[8:9], v[12:13], v[4:5]
	v_mul_f64 v[4:5], v[10:11], v[4:5]
	v_fma_f64 v[8:9], v[10:11], v[2:3], v[8:9]
	v_fma_f64 v[4:5], v[2:3], v[12:13], -v[4:5]
	v_mul_f64 v[2:3], v[8:9], s[0:1]
	v_mul_f64 v[4:5], v[4:5], s[0:1]
	global_store_dwordx4 v[14:15], v[2:5], off
	global_load_dwordx4 v[2:5], v[16:17], off offset:1536
	ds_read_b128 v[6:9], v195 offset:5632
	ds_read_b128 v[10:13], v195 offset:6336
	s_waitcnt vmcnt(0) lgkmcnt(1)
	v_mul_f64 v[16:17], v[8:9], v[4:5]
	v_mul_f64 v[4:5], v[6:7], v[4:5]
	v_fma_f64 v[6:7], v[6:7], v[2:3], v[16:17]
	v_fma_f64 v[4:5], v[2:3], v[8:9], -v[4:5]
	v_mul_f64 v[2:3], v[6:7], s[0:1]
	v_mul_f64 v[4:5], v[4:5], s[0:1]
	v_add_co_u32 v6, vcc_lo, v14, s3
	v_add_co_ci_u32_e32 v7, vcc_lo, s2, v15, vcc_lo
	v_add_co_u32 v14, vcc_lo, 0x1800, v20
	v_add_co_ci_u32_e32 v15, vcc_lo, 0, v21, vcc_lo
	;; [unrolled: 2-line block ×3, first 2 shown]
	global_store_dwordx4 v[6:7], v[2:5], off
	global_load_dwordx4 v[2:5], v[14:15], off offset:192
	s_waitcnt vmcnt(0) lgkmcnt(0)
	v_mul_f64 v[8:9], v[12:13], v[4:5]
	v_mul_f64 v[4:5], v[10:11], v[4:5]
	v_fma_f64 v[8:9], v[10:11], v[2:3], v[8:9]
	v_fma_f64 v[4:5], v[2:3], v[12:13], -v[4:5]
	v_mul_f64 v[2:3], v[8:9], s[0:1]
	v_mul_f64 v[4:5], v[4:5], s[0:1]
	global_store_dwordx4 v[16:17], v[2:5], off
	global_load_dwordx4 v[2:5], v[14:15], off offset:896
	ds_read_b128 v[6:9], v195 offset:7040
	ds_read_b128 v[10:13], v195 offset:7744
	s_waitcnt vmcnt(0) lgkmcnt(1)
	v_mul_f64 v[18:19], v[8:9], v[4:5]
	v_mul_f64 v[4:5], v[6:7], v[4:5]
	v_fma_f64 v[6:7], v[6:7], v[2:3], v[18:19]
	v_fma_f64 v[4:5], v[2:3], v[8:9], -v[4:5]
	v_mul_f64 v[2:3], v[6:7], s[0:1]
	v_mul_f64 v[4:5], v[4:5], s[0:1]
	v_add_co_u32 v6, vcc_lo, v16, s3
	v_add_co_ci_u32_e32 v7, vcc_lo, s2, v17, vcc_lo
	global_store_dwordx4 v[6:7], v[2:5], off
	global_load_dwordx4 v[2:5], v[14:15], off offset:1600
	v_add_co_u32 v14, vcc_lo, v6, s3
	v_add_co_ci_u32_e32 v15, vcc_lo, s2, v7, vcc_lo
	v_add_co_u32 v16, vcc_lo, 0x2000, v20
	v_add_co_ci_u32_e32 v17, vcc_lo, 0, v21, vcc_lo
	s_waitcnt vmcnt(0) lgkmcnt(0)
	v_mul_f64 v[8:9], v[12:13], v[4:5]
	v_mul_f64 v[4:5], v[10:11], v[4:5]
	v_fma_f64 v[8:9], v[10:11], v[2:3], v[8:9]
	v_fma_f64 v[4:5], v[2:3], v[12:13], -v[4:5]
	v_mul_f64 v[2:3], v[8:9], s[0:1]
	v_mul_f64 v[4:5], v[4:5], s[0:1]
	global_store_dwordx4 v[14:15], v[2:5], off
	global_load_dwordx4 v[2:5], v[16:17], off offset:256
	ds_read_b128 v[6:9], v195 offset:8448
	ds_read_b128 v[10:13], v195 offset:9152
	s_waitcnt vmcnt(0) lgkmcnt(1)
	v_mul_f64 v[18:19], v[8:9], v[4:5]
	v_mul_f64 v[4:5], v[6:7], v[4:5]
	v_fma_f64 v[6:7], v[6:7], v[2:3], v[18:19]
	v_fma_f64 v[4:5], v[2:3], v[8:9], -v[4:5]
	v_mul_f64 v[2:3], v[6:7], s[0:1]
	v_mul_f64 v[4:5], v[4:5], s[0:1]
	v_add_co_u32 v6, vcc_lo, v14, s3
	v_add_co_ci_u32_e32 v7, vcc_lo, s2, v15, vcc_lo
	v_add_co_u32 v14, vcc_lo, v6, s3
	v_add_co_ci_u32_e32 v15, vcc_lo, s2, v7, vcc_lo
	global_store_dwordx4 v[6:7], v[2:5], off
	global_load_dwordx4 v[2:5], v[16:17], off offset:960
	s_waitcnt vmcnt(0) lgkmcnt(0)
	v_mul_f64 v[8:9], v[12:13], v[4:5]
	v_mul_f64 v[4:5], v[10:11], v[4:5]
	v_fma_f64 v[8:9], v[10:11], v[2:3], v[8:9]
	v_fma_f64 v[4:5], v[2:3], v[12:13], -v[4:5]
	v_mul_f64 v[2:3], v[8:9], s[0:1]
	v_mul_f64 v[4:5], v[4:5], s[0:1]
	global_store_dwordx4 v[14:15], v[2:5], off
	global_load_dwordx4 v[2:5], v[16:17], off offset:1664
	ds_read_b128 v[6:9], v195 offset:9856
	ds_read_b128 v[10:13], v195 offset:10560
	s_waitcnt vmcnt(0) lgkmcnt(1)
	v_mul_f64 v[16:17], v[8:9], v[4:5]
	v_mul_f64 v[4:5], v[6:7], v[4:5]
	v_fma_f64 v[6:7], v[6:7], v[2:3], v[16:17]
	v_fma_f64 v[4:5], v[2:3], v[8:9], -v[4:5]
	v_mul_f64 v[2:3], v[6:7], s[0:1]
	v_mul_f64 v[4:5], v[4:5], s[0:1]
	v_add_co_u32 v6, vcc_lo, v14, s3
	v_add_co_ci_u32_e32 v7, vcc_lo, s2, v15, vcc_lo
	v_add_co_u32 v8, vcc_lo, 0x2800, v20
	v_add_co_ci_u32_e32 v9, vcc_lo, 0, v21, vcc_lo
	global_store_dwordx4 v[6:7], v[2:5], off
	global_load_dwordx4 v[2:5], v[8:9], off offset:320
	v_add_co_u32 v6, vcc_lo, v6, s3
	v_add_co_ci_u32_e32 v7, vcc_lo, s2, v7, vcc_lo
	s_waitcnt vmcnt(0) lgkmcnt(0)
	v_mul_f64 v[8:9], v[12:13], v[4:5]
	v_mul_f64 v[4:5], v[10:11], v[4:5]
	v_fma_f64 v[8:9], v[10:11], v[2:3], v[8:9]
	v_fma_f64 v[4:5], v[2:3], v[12:13], -v[4:5]
	buffer_load_dword v12, off, s[60:63], 0 offset:44 ; 4-byte Folded Reload
	v_mul_f64 v[2:3], v[8:9], s[0:1]
	v_mul_f64 v[4:5], v[4:5], s[0:1]
	global_store_dwordx4 v[6:7], v[2:5], off
	s_waitcnt vmcnt(0)
	v_lshlrev_b32_e32 v8, 4, v12
	global_load_dwordx4 v[2:5], v8, s[8:9]
	ds_read_b128 v[6:9], v195 offset:11264
	s_waitcnt vmcnt(0) lgkmcnt(0)
	v_mul_f64 v[10:11], v[8:9], v[4:5]
	v_mul_f64 v[4:5], v[6:7], v[4:5]
	v_fma_f64 v[6:7], v[6:7], v[2:3], v[10:11]
	v_fma_f64 v[4:5], v[2:3], v[8:9], -v[4:5]
	v_mad_u64_u32 v[8:9], null, s4, v12, 0
	v_mov_b32_e32 v2, v9
	v_mad_u64_u32 v[9:10], null, s5, v12, v[2:3]
	v_mul_f64 v[2:3], v[6:7], s[0:1]
	v_mul_f64 v[4:5], v[4:5], s[0:1]
	v_lshlrev_b64 v[6:7], 4, v[8:9]
	v_add_co_u32 v0, vcc_lo, v0, v6
	v_add_co_ci_u32_e32 v1, vcc_lo, v1, v7, vcc_lo
	global_store_dwordx4 v[0:1], v[2:5], off
.LBB0_23:
	s_endpgm
	.section	.rodata,"a",@progbits
	.p2align	6, 0x0
	.amdhsa_kernel bluestein_single_fwd_len748_dim1_dp_op_CI_CI
		.amdhsa_group_segment_fixed_size 35904
		.amdhsa_private_segment_fixed_size 516
		.amdhsa_kernarg_size 104
		.amdhsa_user_sgpr_count 6
		.amdhsa_user_sgpr_private_segment_buffer 1
		.amdhsa_user_sgpr_dispatch_ptr 0
		.amdhsa_user_sgpr_queue_ptr 0
		.amdhsa_user_sgpr_kernarg_segment_ptr 1
		.amdhsa_user_sgpr_dispatch_id 0
		.amdhsa_user_sgpr_flat_scratch_init 0
		.amdhsa_user_sgpr_private_segment_size 0
		.amdhsa_wavefront_size32 1
		.amdhsa_uses_dynamic_stack 0
		.amdhsa_system_sgpr_private_segment_wavefront_offset 1
		.amdhsa_system_sgpr_workgroup_id_x 1
		.amdhsa_system_sgpr_workgroup_id_y 0
		.amdhsa_system_sgpr_workgroup_id_z 0
		.amdhsa_system_sgpr_workgroup_info 0
		.amdhsa_system_vgpr_workitem_id 0
		.amdhsa_next_free_vgpr 256
		.amdhsa_next_free_sgpr 64
		.amdhsa_reserve_vcc 1
		.amdhsa_reserve_flat_scratch 0
		.amdhsa_float_round_mode_32 0
		.amdhsa_float_round_mode_16_64 0
		.amdhsa_float_denorm_mode_32 3
		.amdhsa_float_denorm_mode_16_64 3
		.amdhsa_dx10_clamp 1
		.amdhsa_ieee_mode 1
		.amdhsa_fp16_overflow 0
		.amdhsa_workgroup_processor_mode 1
		.amdhsa_memory_ordered 1
		.amdhsa_forward_progress 0
		.amdhsa_shared_vgpr_count 0
		.amdhsa_exception_fp_ieee_invalid_op 0
		.amdhsa_exception_fp_denorm_src 0
		.amdhsa_exception_fp_ieee_div_zero 0
		.amdhsa_exception_fp_ieee_overflow 0
		.amdhsa_exception_fp_ieee_underflow 0
		.amdhsa_exception_fp_ieee_inexact 0
		.amdhsa_exception_int_div_zero 0
	.end_amdhsa_kernel
	.text
.Lfunc_end0:
	.size	bluestein_single_fwd_len748_dim1_dp_op_CI_CI, .Lfunc_end0-bluestein_single_fwd_len748_dim1_dp_op_CI_CI
                                        ; -- End function
	.section	.AMDGPU.csdata,"",@progbits
; Kernel info:
; codeLenInByte = 30864
; NumSgprs: 66
; NumVgprs: 256
; ScratchSize: 516
; MemoryBound: 0
; FloatMode: 240
; IeeeMode: 1
; LDSByteSize: 35904 bytes/workgroup (compile time only)
; SGPRBlocks: 8
; VGPRBlocks: 31
; NumSGPRsForWavesPerEU: 66
; NumVGPRsForWavesPerEU: 256
; Occupancy: 4
; WaveLimiterHint : 1
; COMPUTE_PGM_RSRC2:SCRATCH_EN: 1
; COMPUTE_PGM_RSRC2:USER_SGPR: 6
; COMPUTE_PGM_RSRC2:TRAP_HANDLER: 0
; COMPUTE_PGM_RSRC2:TGID_X_EN: 1
; COMPUTE_PGM_RSRC2:TGID_Y_EN: 0
; COMPUTE_PGM_RSRC2:TGID_Z_EN: 0
; COMPUTE_PGM_RSRC2:TIDIG_COMP_CNT: 0
	.text
	.p2alignl 6, 3214868480
	.fill 48, 4, 3214868480
	.type	__hip_cuid_7fa3a34c966872e,@object ; @__hip_cuid_7fa3a34c966872e
	.section	.bss,"aw",@nobits
	.globl	__hip_cuid_7fa3a34c966872e
__hip_cuid_7fa3a34c966872e:
	.byte	0                               ; 0x0
	.size	__hip_cuid_7fa3a34c966872e, 1

	.ident	"AMD clang version 19.0.0git (https://github.com/RadeonOpenCompute/llvm-project roc-6.4.0 25133 c7fe45cf4b819c5991fe208aaa96edf142730f1d)"
	.section	".note.GNU-stack","",@progbits
	.addrsig
	.addrsig_sym __hip_cuid_7fa3a34c966872e
	.amdgpu_metadata
---
amdhsa.kernels:
  - .args:
      - .actual_access:  read_only
        .address_space:  global
        .offset:         0
        .size:           8
        .value_kind:     global_buffer
      - .actual_access:  read_only
        .address_space:  global
        .offset:         8
        .size:           8
        .value_kind:     global_buffer
      - .actual_access:  read_only
        .address_space:  global
        .offset:         16
        .size:           8
        .value_kind:     global_buffer
      - .actual_access:  read_only
        .address_space:  global
        .offset:         24
        .size:           8
        .value_kind:     global_buffer
      - .actual_access:  read_only
        .address_space:  global
        .offset:         32
        .size:           8
        .value_kind:     global_buffer
      - .offset:         40
        .size:           8
        .value_kind:     by_value
      - .address_space:  global
        .offset:         48
        .size:           8
        .value_kind:     global_buffer
      - .address_space:  global
        .offset:         56
        .size:           8
        .value_kind:     global_buffer
      - .address_space:  global
        .offset:         64
        .size:           8
        .value_kind:     global_buffer
      - .address_space:  global
        .offset:         72
        .size:           8
        .value_kind:     global_buffer
      - .offset:         80
        .size:           4
        .value_kind:     by_value
      - .address_space:  global
        .offset:         88
        .size:           8
        .value_kind:     global_buffer
      - .address_space:  global
        .offset:         96
        .size:           8
        .value_kind:     global_buffer
    .group_segment_fixed_size: 35904
    .kernarg_segment_align: 8
    .kernarg_segment_size: 104
    .language:       OpenCL C
    .language_version:
      - 2
      - 0
    .max_flat_workgroup_size: 204
    .name:           bluestein_single_fwd_len748_dim1_dp_op_CI_CI
    .private_segment_fixed_size: 516
    .sgpr_count:     66
    .sgpr_spill_count: 0
    .symbol:         bluestein_single_fwd_len748_dim1_dp_op_CI_CI.kd
    .uniform_work_group_size: 1
    .uses_dynamic_stack: false
    .vgpr_count:     256
    .vgpr_spill_count: 178
    .wavefront_size: 32
    .workgroup_processor_mode: 1
amdhsa.target:   amdgcn-amd-amdhsa--gfx1030
amdhsa.version:
  - 1
  - 2
...

	.end_amdgpu_metadata
